;; amdgpu-corpus repo=ROCm/rocThrust kind=compiled arch=gfx1100 opt=O3
	.text
	.amdgcn_target "amdgcn-amd-amdhsa--gfx1100"
	.amdhsa_code_object_version 6
	.section	.text._ZN7rocprim17ROCPRIM_400000_NS6detail17trampoline_kernelINS0_14default_configENS1_22reduce_config_selectorI18summary_stats_dataIfEEEZNS1_11reduce_implILb1ES3_PS6_S9_S6_23summary_stats_binary_opIfEEE10hipError_tPvRmT1_T2_T3_mT4_P12ihipStream_tbEUlT_E0_NS1_11comp_targetILNS1_3genE0ELNS1_11target_archE4294967295ELNS1_3gpuE0ELNS1_3repE0EEENS1_30default_config_static_selectorELNS0_4arch9wavefront6targetE0EEEvSF_,"axG",@progbits,_ZN7rocprim17ROCPRIM_400000_NS6detail17trampoline_kernelINS0_14default_configENS1_22reduce_config_selectorI18summary_stats_dataIfEEEZNS1_11reduce_implILb1ES3_PS6_S9_S6_23summary_stats_binary_opIfEEE10hipError_tPvRmT1_T2_T3_mT4_P12ihipStream_tbEUlT_E0_NS1_11comp_targetILNS1_3genE0ELNS1_11target_archE4294967295ELNS1_3gpuE0ELNS1_3repE0EEENS1_30default_config_static_selectorELNS0_4arch9wavefront6targetE0EEEvSF_,comdat
	.protected	_ZN7rocprim17ROCPRIM_400000_NS6detail17trampoline_kernelINS0_14default_configENS1_22reduce_config_selectorI18summary_stats_dataIfEEEZNS1_11reduce_implILb1ES3_PS6_S9_S6_23summary_stats_binary_opIfEEE10hipError_tPvRmT1_T2_T3_mT4_P12ihipStream_tbEUlT_E0_NS1_11comp_targetILNS1_3genE0ELNS1_11target_archE4294967295ELNS1_3gpuE0ELNS1_3repE0EEENS1_30default_config_static_selectorELNS0_4arch9wavefront6targetE0EEEvSF_ ; -- Begin function _ZN7rocprim17ROCPRIM_400000_NS6detail17trampoline_kernelINS0_14default_configENS1_22reduce_config_selectorI18summary_stats_dataIfEEEZNS1_11reduce_implILb1ES3_PS6_S9_S6_23summary_stats_binary_opIfEEE10hipError_tPvRmT1_T2_T3_mT4_P12ihipStream_tbEUlT_E0_NS1_11comp_targetILNS1_3genE0ELNS1_11target_archE4294967295ELNS1_3gpuE0ELNS1_3repE0EEENS1_30default_config_static_selectorELNS0_4arch9wavefront6targetE0EEEvSF_
	.globl	_ZN7rocprim17ROCPRIM_400000_NS6detail17trampoline_kernelINS0_14default_configENS1_22reduce_config_selectorI18summary_stats_dataIfEEEZNS1_11reduce_implILb1ES3_PS6_S9_S6_23summary_stats_binary_opIfEEE10hipError_tPvRmT1_T2_T3_mT4_P12ihipStream_tbEUlT_E0_NS1_11comp_targetILNS1_3genE0ELNS1_11target_archE4294967295ELNS1_3gpuE0ELNS1_3repE0EEENS1_30default_config_static_selectorELNS0_4arch9wavefront6targetE0EEEvSF_
	.p2align	8
	.type	_ZN7rocprim17ROCPRIM_400000_NS6detail17trampoline_kernelINS0_14default_configENS1_22reduce_config_selectorI18summary_stats_dataIfEEEZNS1_11reduce_implILb1ES3_PS6_S9_S6_23summary_stats_binary_opIfEEE10hipError_tPvRmT1_T2_T3_mT4_P12ihipStream_tbEUlT_E0_NS1_11comp_targetILNS1_3genE0ELNS1_11target_archE4294967295ELNS1_3gpuE0ELNS1_3repE0EEENS1_30default_config_static_selectorELNS0_4arch9wavefront6targetE0EEEvSF_,@function
_ZN7rocprim17ROCPRIM_400000_NS6detail17trampoline_kernelINS0_14default_configENS1_22reduce_config_selectorI18summary_stats_dataIfEEEZNS1_11reduce_implILb1ES3_PS6_S9_S6_23summary_stats_binary_opIfEEE10hipError_tPvRmT1_T2_T3_mT4_P12ihipStream_tbEUlT_E0_NS1_11comp_targetILNS1_3genE0ELNS1_11target_archE4294967295ELNS1_3gpuE0ELNS1_3repE0EEENS1_30default_config_static_selectorELNS0_4arch9wavefront6targetE0EEEvSF_: ; @_ZN7rocprim17ROCPRIM_400000_NS6detail17trampoline_kernelINS0_14default_configENS1_22reduce_config_selectorI18summary_stats_dataIfEEEZNS1_11reduce_implILb1ES3_PS6_S9_S6_23summary_stats_binary_opIfEEE10hipError_tPvRmT1_T2_T3_mT4_P12ihipStream_tbEUlT_E0_NS1_11comp_targetILNS1_3genE0ELNS1_11target_archE4294967295ELNS1_3gpuE0ELNS1_3repE0EEENS1_30default_config_static_selectorELNS0_4arch9wavefront6targetE0EEEvSF_
; %bb.0:
	.section	.rodata,"a",@progbits
	.p2align	6, 0x0
	.amdhsa_kernel _ZN7rocprim17ROCPRIM_400000_NS6detail17trampoline_kernelINS0_14default_configENS1_22reduce_config_selectorI18summary_stats_dataIfEEEZNS1_11reduce_implILb1ES3_PS6_S9_S6_23summary_stats_binary_opIfEEE10hipError_tPvRmT1_T2_T3_mT4_P12ihipStream_tbEUlT_E0_NS1_11comp_targetILNS1_3genE0ELNS1_11target_archE4294967295ELNS1_3gpuE0ELNS1_3repE0EEENS1_30default_config_static_selectorELNS0_4arch9wavefront6targetE0EEEvSF_
		.amdhsa_group_segment_fixed_size 0
		.amdhsa_private_segment_fixed_size 0
		.amdhsa_kernarg_size 80
		.amdhsa_user_sgpr_count 15
		.amdhsa_user_sgpr_dispatch_ptr 0
		.amdhsa_user_sgpr_queue_ptr 0
		.amdhsa_user_sgpr_kernarg_segment_ptr 1
		.amdhsa_user_sgpr_dispatch_id 0
		.amdhsa_user_sgpr_private_segment_size 0
		.amdhsa_wavefront_size32 1
		.amdhsa_uses_dynamic_stack 0
		.amdhsa_enable_private_segment 0
		.amdhsa_system_sgpr_workgroup_id_x 1
		.amdhsa_system_sgpr_workgroup_id_y 0
		.amdhsa_system_sgpr_workgroup_id_z 0
		.amdhsa_system_sgpr_workgroup_info 0
		.amdhsa_system_vgpr_workitem_id 0
		.amdhsa_next_free_vgpr 1
		.amdhsa_next_free_sgpr 1
		.amdhsa_reserve_vcc 0
		.amdhsa_float_round_mode_32 0
		.amdhsa_float_round_mode_16_64 0
		.amdhsa_float_denorm_mode_32 3
		.amdhsa_float_denorm_mode_16_64 3
		.amdhsa_dx10_clamp 1
		.amdhsa_ieee_mode 1
		.amdhsa_fp16_overflow 0
		.amdhsa_workgroup_processor_mode 1
		.amdhsa_memory_ordered 1
		.amdhsa_forward_progress 0
		.amdhsa_shared_vgpr_count 0
		.amdhsa_exception_fp_ieee_invalid_op 0
		.amdhsa_exception_fp_denorm_src 0
		.amdhsa_exception_fp_ieee_div_zero 0
		.amdhsa_exception_fp_ieee_overflow 0
		.amdhsa_exception_fp_ieee_underflow 0
		.amdhsa_exception_fp_ieee_inexact 0
		.amdhsa_exception_int_div_zero 0
	.end_amdhsa_kernel
	.section	.text._ZN7rocprim17ROCPRIM_400000_NS6detail17trampoline_kernelINS0_14default_configENS1_22reduce_config_selectorI18summary_stats_dataIfEEEZNS1_11reduce_implILb1ES3_PS6_S9_S6_23summary_stats_binary_opIfEEE10hipError_tPvRmT1_T2_T3_mT4_P12ihipStream_tbEUlT_E0_NS1_11comp_targetILNS1_3genE0ELNS1_11target_archE4294967295ELNS1_3gpuE0ELNS1_3repE0EEENS1_30default_config_static_selectorELNS0_4arch9wavefront6targetE0EEEvSF_,"axG",@progbits,_ZN7rocprim17ROCPRIM_400000_NS6detail17trampoline_kernelINS0_14default_configENS1_22reduce_config_selectorI18summary_stats_dataIfEEEZNS1_11reduce_implILb1ES3_PS6_S9_S6_23summary_stats_binary_opIfEEE10hipError_tPvRmT1_T2_T3_mT4_P12ihipStream_tbEUlT_E0_NS1_11comp_targetILNS1_3genE0ELNS1_11target_archE4294967295ELNS1_3gpuE0ELNS1_3repE0EEENS1_30default_config_static_selectorELNS0_4arch9wavefront6targetE0EEEvSF_,comdat
.Lfunc_end0:
	.size	_ZN7rocprim17ROCPRIM_400000_NS6detail17trampoline_kernelINS0_14default_configENS1_22reduce_config_selectorI18summary_stats_dataIfEEEZNS1_11reduce_implILb1ES3_PS6_S9_S6_23summary_stats_binary_opIfEEE10hipError_tPvRmT1_T2_T3_mT4_P12ihipStream_tbEUlT_E0_NS1_11comp_targetILNS1_3genE0ELNS1_11target_archE4294967295ELNS1_3gpuE0ELNS1_3repE0EEENS1_30default_config_static_selectorELNS0_4arch9wavefront6targetE0EEEvSF_, .Lfunc_end0-_ZN7rocprim17ROCPRIM_400000_NS6detail17trampoline_kernelINS0_14default_configENS1_22reduce_config_selectorI18summary_stats_dataIfEEEZNS1_11reduce_implILb1ES3_PS6_S9_S6_23summary_stats_binary_opIfEEE10hipError_tPvRmT1_T2_T3_mT4_P12ihipStream_tbEUlT_E0_NS1_11comp_targetILNS1_3genE0ELNS1_11target_archE4294967295ELNS1_3gpuE0ELNS1_3repE0EEENS1_30default_config_static_selectorELNS0_4arch9wavefront6targetE0EEEvSF_
                                        ; -- End function
	.section	.AMDGPU.csdata,"",@progbits
; Kernel info:
; codeLenInByte = 0
; NumSgprs: 0
; NumVgprs: 0
; ScratchSize: 0
; MemoryBound: 0
; FloatMode: 240
; IeeeMode: 1
; LDSByteSize: 0 bytes/workgroup (compile time only)
; SGPRBlocks: 0
; VGPRBlocks: 0
; NumSGPRsForWavesPerEU: 1
; NumVGPRsForWavesPerEU: 1
; Occupancy: 16
; WaveLimiterHint : 0
; COMPUTE_PGM_RSRC2:SCRATCH_EN: 0
; COMPUTE_PGM_RSRC2:USER_SGPR: 15
; COMPUTE_PGM_RSRC2:TRAP_HANDLER: 0
; COMPUTE_PGM_RSRC2:TGID_X_EN: 1
; COMPUTE_PGM_RSRC2:TGID_Y_EN: 0
; COMPUTE_PGM_RSRC2:TGID_Z_EN: 0
; COMPUTE_PGM_RSRC2:TIDIG_COMP_CNT: 0
	.section	.text._ZN7rocprim17ROCPRIM_400000_NS6detail17trampoline_kernelINS0_14default_configENS1_22reduce_config_selectorI18summary_stats_dataIfEEEZNS1_11reduce_implILb1ES3_PS6_S9_S6_23summary_stats_binary_opIfEEE10hipError_tPvRmT1_T2_T3_mT4_P12ihipStream_tbEUlT_E0_NS1_11comp_targetILNS1_3genE5ELNS1_11target_archE942ELNS1_3gpuE9ELNS1_3repE0EEENS1_30default_config_static_selectorELNS0_4arch9wavefront6targetE0EEEvSF_,"axG",@progbits,_ZN7rocprim17ROCPRIM_400000_NS6detail17trampoline_kernelINS0_14default_configENS1_22reduce_config_selectorI18summary_stats_dataIfEEEZNS1_11reduce_implILb1ES3_PS6_S9_S6_23summary_stats_binary_opIfEEE10hipError_tPvRmT1_T2_T3_mT4_P12ihipStream_tbEUlT_E0_NS1_11comp_targetILNS1_3genE5ELNS1_11target_archE942ELNS1_3gpuE9ELNS1_3repE0EEENS1_30default_config_static_selectorELNS0_4arch9wavefront6targetE0EEEvSF_,comdat
	.protected	_ZN7rocprim17ROCPRIM_400000_NS6detail17trampoline_kernelINS0_14default_configENS1_22reduce_config_selectorI18summary_stats_dataIfEEEZNS1_11reduce_implILb1ES3_PS6_S9_S6_23summary_stats_binary_opIfEEE10hipError_tPvRmT1_T2_T3_mT4_P12ihipStream_tbEUlT_E0_NS1_11comp_targetILNS1_3genE5ELNS1_11target_archE942ELNS1_3gpuE9ELNS1_3repE0EEENS1_30default_config_static_selectorELNS0_4arch9wavefront6targetE0EEEvSF_ ; -- Begin function _ZN7rocprim17ROCPRIM_400000_NS6detail17trampoline_kernelINS0_14default_configENS1_22reduce_config_selectorI18summary_stats_dataIfEEEZNS1_11reduce_implILb1ES3_PS6_S9_S6_23summary_stats_binary_opIfEEE10hipError_tPvRmT1_T2_T3_mT4_P12ihipStream_tbEUlT_E0_NS1_11comp_targetILNS1_3genE5ELNS1_11target_archE942ELNS1_3gpuE9ELNS1_3repE0EEENS1_30default_config_static_selectorELNS0_4arch9wavefront6targetE0EEEvSF_
	.globl	_ZN7rocprim17ROCPRIM_400000_NS6detail17trampoline_kernelINS0_14default_configENS1_22reduce_config_selectorI18summary_stats_dataIfEEEZNS1_11reduce_implILb1ES3_PS6_S9_S6_23summary_stats_binary_opIfEEE10hipError_tPvRmT1_T2_T3_mT4_P12ihipStream_tbEUlT_E0_NS1_11comp_targetILNS1_3genE5ELNS1_11target_archE942ELNS1_3gpuE9ELNS1_3repE0EEENS1_30default_config_static_selectorELNS0_4arch9wavefront6targetE0EEEvSF_
	.p2align	8
	.type	_ZN7rocprim17ROCPRIM_400000_NS6detail17trampoline_kernelINS0_14default_configENS1_22reduce_config_selectorI18summary_stats_dataIfEEEZNS1_11reduce_implILb1ES3_PS6_S9_S6_23summary_stats_binary_opIfEEE10hipError_tPvRmT1_T2_T3_mT4_P12ihipStream_tbEUlT_E0_NS1_11comp_targetILNS1_3genE5ELNS1_11target_archE942ELNS1_3gpuE9ELNS1_3repE0EEENS1_30default_config_static_selectorELNS0_4arch9wavefront6targetE0EEEvSF_,@function
_ZN7rocprim17ROCPRIM_400000_NS6detail17trampoline_kernelINS0_14default_configENS1_22reduce_config_selectorI18summary_stats_dataIfEEEZNS1_11reduce_implILb1ES3_PS6_S9_S6_23summary_stats_binary_opIfEEE10hipError_tPvRmT1_T2_T3_mT4_P12ihipStream_tbEUlT_E0_NS1_11comp_targetILNS1_3genE5ELNS1_11target_archE942ELNS1_3gpuE9ELNS1_3repE0EEENS1_30default_config_static_selectorELNS0_4arch9wavefront6targetE0EEEvSF_: ; @_ZN7rocprim17ROCPRIM_400000_NS6detail17trampoline_kernelINS0_14default_configENS1_22reduce_config_selectorI18summary_stats_dataIfEEEZNS1_11reduce_implILb1ES3_PS6_S9_S6_23summary_stats_binary_opIfEEE10hipError_tPvRmT1_T2_T3_mT4_P12ihipStream_tbEUlT_E0_NS1_11comp_targetILNS1_3genE5ELNS1_11target_archE942ELNS1_3gpuE9ELNS1_3repE0EEENS1_30default_config_static_selectorELNS0_4arch9wavefront6targetE0EEEvSF_
; %bb.0:
	.section	.rodata,"a",@progbits
	.p2align	6, 0x0
	.amdhsa_kernel _ZN7rocprim17ROCPRIM_400000_NS6detail17trampoline_kernelINS0_14default_configENS1_22reduce_config_selectorI18summary_stats_dataIfEEEZNS1_11reduce_implILb1ES3_PS6_S9_S6_23summary_stats_binary_opIfEEE10hipError_tPvRmT1_T2_T3_mT4_P12ihipStream_tbEUlT_E0_NS1_11comp_targetILNS1_3genE5ELNS1_11target_archE942ELNS1_3gpuE9ELNS1_3repE0EEENS1_30default_config_static_selectorELNS0_4arch9wavefront6targetE0EEEvSF_
		.amdhsa_group_segment_fixed_size 0
		.amdhsa_private_segment_fixed_size 0
		.amdhsa_kernarg_size 80
		.amdhsa_user_sgpr_count 15
		.amdhsa_user_sgpr_dispatch_ptr 0
		.amdhsa_user_sgpr_queue_ptr 0
		.amdhsa_user_sgpr_kernarg_segment_ptr 1
		.amdhsa_user_sgpr_dispatch_id 0
		.amdhsa_user_sgpr_private_segment_size 0
		.amdhsa_wavefront_size32 1
		.amdhsa_uses_dynamic_stack 0
		.amdhsa_enable_private_segment 0
		.amdhsa_system_sgpr_workgroup_id_x 1
		.amdhsa_system_sgpr_workgroup_id_y 0
		.amdhsa_system_sgpr_workgroup_id_z 0
		.amdhsa_system_sgpr_workgroup_info 0
		.amdhsa_system_vgpr_workitem_id 0
		.amdhsa_next_free_vgpr 1
		.amdhsa_next_free_sgpr 1
		.amdhsa_reserve_vcc 0
		.amdhsa_float_round_mode_32 0
		.amdhsa_float_round_mode_16_64 0
		.amdhsa_float_denorm_mode_32 3
		.amdhsa_float_denorm_mode_16_64 3
		.amdhsa_dx10_clamp 1
		.amdhsa_ieee_mode 1
		.amdhsa_fp16_overflow 0
		.amdhsa_workgroup_processor_mode 1
		.amdhsa_memory_ordered 1
		.amdhsa_forward_progress 0
		.amdhsa_shared_vgpr_count 0
		.amdhsa_exception_fp_ieee_invalid_op 0
		.amdhsa_exception_fp_denorm_src 0
		.amdhsa_exception_fp_ieee_div_zero 0
		.amdhsa_exception_fp_ieee_overflow 0
		.amdhsa_exception_fp_ieee_underflow 0
		.amdhsa_exception_fp_ieee_inexact 0
		.amdhsa_exception_int_div_zero 0
	.end_amdhsa_kernel
	.section	.text._ZN7rocprim17ROCPRIM_400000_NS6detail17trampoline_kernelINS0_14default_configENS1_22reduce_config_selectorI18summary_stats_dataIfEEEZNS1_11reduce_implILb1ES3_PS6_S9_S6_23summary_stats_binary_opIfEEE10hipError_tPvRmT1_T2_T3_mT4_P12ihipStream_tbEUlT_E0_NS1_11comp_targetILNS1_3genE5ELNS1_11target_archE942ELNS1_3gpuE9ELNS1_3repE0EEENS1_30default_config_static_selectorELNS0_4arch9wavefront6targetE0EEEvSF_,"axG",@progbits,_ZN7rocprim17ROCPRIM_400000_NS6detail17trampoline_kernelINS0_14default_configENS1_22reduce_config_selectorI18summary_stats_dataIfEEEZNS1_11reduce_implILb1ES3_PS6_S9_S6_23summary_stats_binary_opIfEEE10hipError_tPvRmT1_T2_T3_mT4_P12ihipStream_tbEUlT_E0_NS1_11comp_targetILNS1_3genE5ELNS1_11target_archE942ELNS1_3gpuE9ELNS1_3repE0EEENS1_30default_config_static_selectorELNS0_4arch9wavefront6targetE0EEEvSF_,comdat
.Lfunc_end1:
	.size	_ZN7rocprim17ROCPRIM_400000_NS6detail17trampoline_kernelINS0_14default_configENS1_22reduce_config_selectorI18summary_stats_dataIfEEEZNS1_11reduce_implILb1ES3_PS6_S9_S6_23summary_stats_binary_opIfEEE10hipError_tPvRmT1_T2_T3_mT4_P12ihipStream_tbEUlT_E0_NS1_11comp_targetILNS1_3genE5ELNS1_11target_archE942ELNS1_3gpuE9ELNS1_3repE0EEENS1_30default_config_static_selectorELNS0_4arch9wavefront6targetE0EEEvSF_, .Lfunc_end1-_ZN7rocprim17ROCPRIM_400000_NS6detail17trampoline_kernelINS0_14default_configENS1_22reduce_config_selectorI18summary_stats_dataIfEEEZNS1_11reduce_implILb1ES3_PS6_S9_S6_23summary_stats_binary_opIfEEE10hipError_tPvRmT1_T2_T3_mT4_P12ihipStream_tbEUlT_E0_NS1_11comp_targetILNS1_3genE5ELNS1_11target_archE942ELNS1_3gpuE9ELNS1_3repE0EEENS1_30default_config_static_selectorELNS0_4arch9wavefront6targetE0EEEvSF_
                                        ; -- End function
	.section	.AMDGPU.csdata,"",@progbits
; Kernel info:
; codeLenInByte = 0
; NumSgprs: 0
; NumVgprs: 0
; ScratchSize: 0
; MemoryBound: 0
; FloatMode: 240
; IeeeMode: 1
; LDSByteSize: 0 bytes/workgroup (compile time only)
; SGPRBlocks: 0
; VGPRBlocks: 0
; NumSGPRsForWavesPerEU: 1
; NumVGPRsForWavesPerEU: 1
; Occupancy: 16
; WaveLimiterHint : 0
; COMPUTE_PGM_RSRC2:SCRATCH_EN: 0
; COMPUTE_PGM_RSRC2:USER_SGPR: 15
; COMPUTE_PGM_RSRC2:TRAP_HANDLER: 0
; COMPUTE_PGM_RSRC2:TGID_X_EN: 1
; COMPUTE_PGM_RSRC2:TGID_Y_EN: 0
; COMPUTE_PGM_RSRC2:TGID_Z_EN: 0
; COMPUTE_PGM_RSRC2:TIDIG_COMP_CNT: 0
	.section	.text._ZN7rocprim17ROCPRIM_400000_NS6detail17trampoline_kernelINS0_14default_configENS1_22reduce_config_selectorI18summary_stats_dataIfEEEZNS1_11reduce_implILb1ES3_PS6_S9_S6_23summary_stats_binary_opIfEEE10hipError_tPvRmT1_T2_T3_mT4_P12ihipStream_tbEUlT_E0_NS1_11comp_targetILNS1_3genE4ELNS1_11target_archE910ELNS1_3gpuE8ELNS1_3repE0EEENS1_30default_config_static_selectorELNS0_4arch9wavefront6targetE0EEEvSF_,"axG",@progbits,_ZN7rocprim17ROCPRIM_400000_NS6detail17trampoline_kernelINS0_14default_configENS1_22reduce_config_selectorI18summary_stats_dataIfEEEZNS1_11reduce_implILb1ES3_PS6_S9_S6_23summary_stats_binary_opIfEEE10hipError_tPvRmT1_T2_T3_mT4_P12ihipStream_tbEUlT_E0_NS1_11comp_targetILNS1_3genE4ELNS1_11target_archE910ELNS1_3gpuE8ELNS1_3repE0EEENS1_30default_config_static_selectorELNS0_4arch9wavefront6targetE0EEEvSF_,comdat
	.protected	_ZN7rocprim17ROCPRIM_400000_NS6detail17trampoline_kernelINS0_14default_configENS1_22reduce_config_selectorI18summary_stats_dataIfEEEZNS1_11reduce_implILb1ES3_PS6_S9_S6_23summary_stats_binary_opIfEEE10hipError_tPvRmT1_T2_T3_mT4_P12ihipStream_tbEUlT_E0_NS1_11comp_targetILNS1_3genE4ELNS1_11target_archE910ELNS1_3gpuE8ELNS1_3repE0EEENS1_30default_config_static_selectorELNS0_4arch9wavefront6targetE0EEEvSF_ ; -- Begin function _ZN7rocprim17ROCPRIM_400000_NS6detail17trampoline_kernelINS0_14default_configENS1_22reduce_config_selectorI18summary_stats_dataIfEEEZNS1_11reduce_implILb1ES3_PS6_S9_S6_23summary_stats_binary_opIfEEE10hipError_tPvRmT1_T2_T3_mT4_P12ihipStream_tbEUlT_E0_NS1_11comp_targetILNS1_3genE4ELNS1_11target_archE910ELNS1_3gpuE8ELNS1_3repE0EEENS1_30default_config_static_selectorELNS0_4arch9wavefront6targetE0EEEvSF_
	.globl	_ZN7rocprim17ROCPRIM_400000_NS6detail17trampoline_kernelINS0_14default_configENS1_22reduce_config_selectorI18summary_stats_dataIfEEEZNS1_11reduce_implILb1ES3_PS6_S9_S6_23summary_stats_binary_opIfEEE10hipError_tPvRmT1_T2_T3_mT4_P12ihipStream_tbEUlT_E0_NS1_11comp_targetILNS1_3genE4ELNS1_11target_archE910ELNS1_3gpuE8ELNS1_3repE0EEENS1_30default_config_static_selectorELNS0_4arch9wavefront6targetE0EEEvSF_
	.p2align	8
	.type	_ZN7rocprim17ROCPRIM_400000_NS6detail17trampoline_kernelINS0_14default_configENS1_22reduce_config_selectorI18summary_stats_dataIfEEEZNS1_11reduce_implILb1ES3_PS6_S9_S6_23summary_stats_binary_opIfEEE10hipError_tPvRmT1_T2_T3_mT4_P12ihipStream_tbEUlT_E0_NS1_11comp_targetILNS1_3genE4ELNS1_11target_archE910ELNS1_3gpuE8ELNS1_3repE0EEENS1_30default_config_static_selectorELNS0_4arch9wavefront6targetE0EEEvSF_,@function
_ZN7rocprim17ROCPRIM_400000_NS6detail17trampoline_kernelINS0_14default_configENS1_22reduce_config_selectorI18summary_stats_dataIfEEEZNS1_11reduce_implILb1ES3_PS6_S9_S6_23summary_stats_binary_opIfEEE10hipError_tPvRmT1_T2_T3_mT4_P12ihipStream_tbEUlT_E0_NS1_11comp_targetILNS1_3genE4ELNS1_11target_archE910ELNS1_3gpuE8ELNS1_3repE0EEENS1_30default_config_static_selectorELNS0_4arch9wavefront6targetE0EEEvSF_: ; @_ZN7rocprim17ROCPRIM_400000_NS6detail17trampoline_kernelINS0_14default_configENS1_22reduce_config_selectorI18summary_stats_dataIfEEEZNS1_11reduce_implILb1ES3_PS6_S9_S6_23summary_stats_binary_opIfEEE10hipError_tPvRmT1_T2_T3_mT4_P12ihipStream_tbEUlT_E0_NS1_11comp_targetILNS1_3genE4ELNS1_11target_archE910ELNS1_3gpuE8ELNS1_3repE0EEENS1_30default_config_static_selectorELNS0_4arch9wavefront6targetE0EEEvSF_
; %bb.0:
	.section	.rodata,"a",@progbits
	.p2align	6, 0x0
	.amdhsa_kernel _ZN7rocprim17ROCPRIM_400000_NS6detail17trampoline_kernelINS0_14default_configENS1_22reduce_config_selectorI18summary_stats_dataIfEEEZNS1_11reduce_implILb1ES3_PS6_S9_S6_23summary_stats_binary_opIfEEE10hipError_tPvRmT1_T2_T3_mT4_P12ihipStream_tbEUlT_E0_NS1_11comp_targetILNS1_3genE4ELNS1_11target_archE910ELNS1_3gpuE8ELNS1_3repE0EEENS1_30default_config_static_selectorELNS0_4arch9wavefront6targetE0EEEvSF_
		.amdhsa_group_segment_fixed_size 0
		.amdhsa_private_segment_fixed_size 0
		.amdhsa_kernarg_size 80
		.amdhsa_user_sgpr_count 15
		.amdhsa_user_sgpr_dispatch_ptr 0
		.amdhsa_user_sgpr_queue_ptr 0
		.amdhsa_user_sgpr_kernarg_segment_ptr 1
		.amdhsa_user_sgpr_dispatch_id 0
		.amdhsa_user_sgpr_private_segment_size 0
		.amdhsa_wavefront_size32 1
		.amdhsa_uses_dynamic_stack 0
		.amdhsa_enable_private_segment 0
		.amdhsa_system_sgpr_workgroup_id_x 1
		.amdhsa_system_sgpr_workgroup_id_y 0
		.amdhsa_system_sgpr_workgroup_id_z 0
		.amdhsa_system_sgpr_workgroup_info 0
		.amdhsa_system_vgpr_workitem_id 0
		.amdhsa_next_free_vgpr 1
		.amdhsa_next_free_sgpr 1
		.amdhsa_reserve_vcc 0
		.amdhsa_float_round_mode_32 0
		.amdhsa_float_round_mode_16_64 0
		.amdhsa_float_denorm_mode_32 3
		.amdhsa_float_denorm_mode_16_64 3
		.amdhsa_dx10_clamp 1
		.amdhsa_ieee_mode 1
		.amdhsa_fp16_overflow 0
		.amdhsa_workgroup_processor_mode 1
		.amdhsa_memory_ordered 1
		.amdhsa_forward_progress 0
		.amdhsa_shared_vgpr_count 0
		.amdhsa_exception_fp_ieee_invalid_op 0
		.amdhsa_exception_fp_denorm_src 0
		.amdhsa_exception_fp_ieee_div_zero 0
		.amdhsa_exception_fp_ieee_overflow 0
		.amdhsa_exception_fp_ieee_underflow 0
		.amdhsa_exception_fp_ieee_inexact 0
		.amdhsa_exception_int_div_zero 0
	.end_amdhsa_kernel
	.section	.text._ZN7rocprim17ROCPRIM_400000_NS6detail17trampoline_kernelINS0_14default_configENS1_22reduce_config_selectorI18summary_stats_dataIfEEEZNS1_11reduce_implILb1ES3_PS6_S9_S6_23summary_stats_binary_opIfEEE10hipError_tPvRmT1_T2_T3_mT4_P12ihipStream_tbEUlT_E0_NS1_11comp_targetILNS1_3genE4ELNS1_11target_archE910ELNS1_3gpuE8ELNS1_3repE0EEENS1_30default_config_static_selectorELNS0_4arch9wavefront6targetE0EEEvSF_,"axG",@progbits,_ZN7rocprim17ROCPRIM_400000_NS6detail17trampoline_kernelINS0_14default_configENS1_22reduce_config_selectorI18summary_stats_dataIfEEEZNS1_11reduce_implILb1ES3_PS6_S9_S6_23summary_stats_binary_opIfEEE10hipError_tPvRmT1_T2_T3_mT4_P12ihipStream_tbEUlT_E0_NS1_11comp_targetILNS1_3genE4ELNS1_11target_archE910ELNS1_3gpuE8ELNS1_3repE0EEENS1_30default_config_static_selectorELNS0_4arch9wavefront6targetE0EEEvSF_,comdat
.Lfunc_end2:
	.size	_ZN7rocprim17ROCPRIM_400000_NS6detail17trampoline_kernelINS0_14default_configENS1_22reduce_config_selectorI18summary_stats_dataIfEEEZNS1_11reduce_implILb1ES3_PS6_S9_S6_23summary_stats_binary_opIfEEE10hipError_tPvRmT1_T2_T3_mT4_P12ihipStream_tbEUlT_E0_NS1_11comp_targetILNS1_3genE4ELNS1_11target_archE910ELNS1_3gpuE8ELNS1_3repE0EEENS1_30default_config_static_selectorELNS0_4arch9wavefront6targetE0EEEvSF_, .Lfunc_end2-_ZN7rocprim17ROCPRIM_400000_NS6detail17trampoline_kernelINS0_14default_configENS1_22reduce_config_selectorI18summary_stats_dataIfEEEZNS1_11reduce_implILb1ES3_PS6_S9_S6_23summary_stats_binary_opIfEEE10hipError_tPvRmT1_T2_T3_mT4_P12ihipStream_tbEUlT_E0_NS1_11comp_targetILNS1_3genE4ELNS1_11target_archE910ELNS1_3gpuE8ELNS1_3repE0EEENS1_30default_config_static_selectorELNS0_4arch9wavefront6targetE0EEEvSF_
                                        ; -- End function
	.section	.AMDGPU.csdata,"",@progbits
; Kernel info:
; codeLenInByte = 0
; NumSgprs: 0
; NumVgprs: 0
; ScratchSize: 0
; MemoryBound: 0
; FloatMode: 240
; IeeeMode: 1
; LDSByteSize: 0 bytes/workgroup (compile time only)
; SGPRBlocks: 0
; VGPRBlocks: 0
; NumSGPRsForWavesPerEU: 1
; NumVGPRsForWavesPerEU: 1
; Occupancy: 16
; WaveLimiterHint : 0
; COMPUTE_PGM_RSRC2:SCRATCH_EN: 0
; COMPUTE_PGM_RSRC2:USER_SGPR: 15
; COMPUTE_PGM_RSRC2:TRAP_HANDLER: 0
; COMPUTE_PGM_RSRC2:TGID_X_EN: 1
; COMPUTE_PGM_RSRC2:TGID_Y_EN: 0
; COMPUTE_PGM_RSRC2:TGID_Z_EN: 0
; COMPUTE_PGM_RSRC2:TIDIG_COMP_CNT: 0
	.section	.text._ZN7rocprim17ROCPRIM_400000_NS6detail17trampoline_kernelINS0_14default_configENS1_22reduce_config_selectorI18summary_stats_dataIfEEEZNS1_11reduce_implILb1ES3_PS6_S9_S6_23summary_stats_binary_opIfEEE10hipError_tPvRmT1_T2_T3_mT4_P12ihipStream_tbEUlT_E0_NS1_11comp_targetILNS1_3genE3ELNS1_11target_archE908ELNS1_3gpuE7ELNS1_3repE0EEENS1_30default_config_static_selectorELNS0_4arch9wavefront6targetE0EEEvSF_,"axG",@progbits,_ZN7rocprim17ROCPRIM_400000_NS6detail17trampoline_kernelINS0_14default_configENS1_22reduce_config_selectorI18summary_stats_dataIfEEEZNS1_11reduce_implILb1ES3_PS6_S9_S6_23summary_stats_binary_opIfEEE10hipError_tPvRmT1_T2_T3_mT4_P12ihipStream_tbEUlT_E0_NS1_11comp_targetILNS1_3genE3ELNS1_11target_archE908ELNS1_3gpuE7ELNS1_3repE0EEENS1_30default_config_static_selectorELNS0_4arch9wavefront6targetE0EEEvSF_,comdat
	.protected	_ZN7rocprim17ROCPRIM_400000_NS6detail17trampoline_kernelINS0_14default_configENS1_22reduce_config_selectorI18summary_stats_dataIfEEEZNS1_11reduce_implILb1ES3_PS6_S9_S6_23summary_stats_binary_opIfEEE10hipError_tPvRmT1_T2_T3_mT4_P12ihipStream_tbEUlT_E0_NS1_11comp_targetILNS1_3genE3ELNS1_11target_archE908ELNS1_3gpuE7ELNS1_3repE0EEENS1_30default_config_static_selectorELNS0_4arch9wavefront6targetE0EEEvSF_ ; -- Begin function _ZN7rocprim17ROCPRIM_400000_NS6detail17trampoline_kernelINS0_14default_configENS1_22reduce_config_selectorI18summary_stats_dataIfEEEZNS1_11reduce_implILb1ES3_PS6_S9_S6_23summary_stats_binary_opIfEEE10hipError_tPvRmT1_T2_T3_mT4_P12ihipStream_tbEUlT_E0_NS1_11comp_targetILNS1_3genE3ELNS1_11target_archE908ELNS1_3gpuE7ELNS1_3repE0EEENS1_30default_config_static_selectorELNS0_4arch9wavefront6targetE0EEEvSF_
	.globl	_ZN7rocprim17ROCPRIM_400000_NS6detail17trampoline_kernelINS0_14default_configENS1_22reduce_config_selectorI18summary_stats_dataIfEEEZNS1_11reduce_implILb1ES3_PS6_S9_S6_23summary_stats_binary_opIfEEE10hipError_tPvRmT1_T2_T3_mT4_P12ihipStream_tbEUlT_E0_NS1_11comp_targetILNS1_3genE3ELNS1_11target_archE908ELNS1_3gpuE7ELNS1_3repE0EEENS1_30default_config_static_selectorELNS0_4arch9wavefront6targetE0EEEvSF_
	.p2align	8
	.type	_ZN7rocprim17ROCPRIM_400000_NS6detail17trampoline_kernelINS0_14default_configENS1_22reduce_config_selectorI18summary_stats_dataIfEEEZNS1_11reduce_implILb1ES3_PS6_S9_S6_23summary_stats_binary_opIfEEE10hipError_tPvRmT1_T2_T3_mT4_P12ihipStream_tbEUlT_E0_NS1_11comp_targetILNS1_3genE3ELNS1_11target_archE908ELNS1_3gpuE7ELNS1_3repE0EEENS1_30default_config_static_selectorELNS0_4arch9wavefront6targetE0EEEvSF_,@function
_ZN7rocprim17ROCPRIM_400000_NS6detail17trampoline_kernelINS0_14default_configENS1_22reduce_config_selectorI18summary_stats_dataIfEEEZNS1_11reduce_implILb1ES3_PS6_S9_S6_23summary_stats_binary_opIfEEE10hipError_tPvRmT1_T2_T3_mT4_P12ihipStream_tbEUlT_E0_NS1_11comp_targetILNS1_3genE3ELNS1_11target_archE908ELNS1_3gpuE7ELNS1_3repE0EEENS1_30default_config_static_selectorELNS0_4arch9wavefront6targetE0EEEvSF_: ; @_ZN7rocprim17ROCPRIM_400000_NS6detail17trampoline_kernelINS0_14default_configENS1_22reduce_config_selectorI18summary_stats_dataIfEEEZNS1_11reduce_implILb1ES3_PS6_S9_S6_23summary_stats_binary_opIfEEE10hipError_tPvRmT1_T2_T3_mT4_P12ihipStream_tbEUlT_E0_NS1_11comp_targetILNS1_3genE3ELNS1_11target_archE908ELNS1_3gpuE7ELNS1_3repE0EEENS1_30default_config_static_selectorELNS0_4arch9wavefront6targetE0EEEvSF_
; %bb.0:
	.section	.rodata,"a",@progbits
	.p2align	6, 0x0
	.amdhsa_kernel _ZN7rocprim17ROCPRIM_400000_NS6detail17trampoline_kernelINS0_14default_configENS1_22reduce_config_selectorI18summary_stats_dataIfEEEZNS1_11reduce_implILb1ES3_PS6_S9_S6_23summary_stats_binary_opIfEEE10hipError_tPvRmT1_T2_T3_mT4_P12ihipStream_tbEUlT_E0_NS1_11comp_targetILNS1_3genE3ELNS1_11target_archE908ELNS1_3gpuE7ELNS1_3repE0EEENS1_30default_config_static_selectorELNS0_4arch9wavefront6targetE0EEEvSF_
		.amdhsa_group_segment_fixed_size 0
		.amdhsa_private_segment_fixed_size 0
		.amdhsa_kernarg_size 80
		.amdhsa_user_sgpr_count 15
		.amdhsa_user_sgpr_dispatch_ptr 0
		.amdhsa_user_sgpr_queue_ptr 0
		.amdhsa_user_sgpr_kernarg_segment_ptr 1
		.amdhsa_user_sgpr_dispatch_id 0
		.amdhsa_user_sgpr_private_segment_size 0
		.amdhsa_wavefront_size32 1
		.amdhsa_uses_dynamic_stack 0
		.amdhsa_enable_private_segment 0
		.amdhsa_system_sgpr_workgroup_id_x 1
		.amdhsa_system_sgpr_workgroup_id_y 0
		.amdhsa_system_sgpr_workgroup_id_z 0
		.amdhsa_system_sgpr_workgroup_info 0
		.amdhsa_system_vgpr_workitem_id 0
		.amdhsa_next_free_vgpr 1
		.amdhsa_next_free_sgpr 1
		.amdhsa_reserve_vcc 0
		.amdhsa_float_round_mode_32 0
		.amdhsa_float_round_mode_16_64 0
		.amdhsa_float_denorm_mode_32 3
		.amdhsa_float_denorm_mode_16_64 3
		.amdhsa_dx10_clamp 1
		.amdhsa_ieee_mode 1
		.amdhsa_fp16_overflow 0
		.amdhsa_workgroup_processor_mode 1
		.amdhsa_memory_ordered 1
		.amdhsa_forward_progress 0
		.amdhsa_shared_vgpr_count 0
		.amdhsa_exception_fp_ieee_invalid_op 0
		.amdhsa_exception_fp_denorm_src 0
		.amdhsa_exception_fp_ieee_div_zero 0
		.amdhsa_exception_fp_ieee_overflow 0
		.amdhsa_exception_fp_ieee_underflow 0
		.amdhsa_exception_fp_ieee_inexact 0
		.amdhsa_exception_int_div_zero 0
	.end_amdhsa_kernel
	.section	.text._ZN7rocprim17ROCPRIM_400000_NS6detail17trampoline_kernelINS0_14default_configENS1_22reduce_config_selectorI18summary_stats_dataIfEEEZNS1_11reduce_implILb1ES3_PS6_S9_S6_23summary_stats_binary_opIfEEE10hipError_tPvRmT1_T2_T3_mT4_P12ihipStream_tbEUlT_E0_NS1_11comp_targetILNS1_3genE3ELNS1_11target_archE908ELNS1_3gpuE7ELNS1_3repE0EEENS1_30default_config_static_selectorELNS0_4arch9wavefront6targetE0EEEvSF_,"axG",@progbits,_ZN7rocprim17ROCPRIM_400000_NS6detail17trampoline_kernelINS0_14default_configENS1_22reduce_config_selectorI18summary_stats_dataIfEEEZNS1_11reduce_implILb1ES3_PS6_S9_S6_23summary_stats_binary_opIfEEE10hipError_tPvRmT1_T2_T3_mT4_P12ihipStream_tbEUlT_E0_NS1_11comp_targetILNS1_3genE3ELNS1_11target_archE908ELNS1_3gpuE7ELNS1_3repE0EEENS1_30default_config_static_selectorELNS0_4arch9wavefront6targetE0EEEvSF_,comdat
.Lfunc_end3:
	.size	_ZN7rocprim17ROCPRIM_400000_NS6detail17trampoline_kernelINS0_14default_configENS1_22reduce_config_selectorI18summary_stats_dataIfEEEZNS1_11reduce_implILb1ES3_PS6_S9_S6_23summary_stats_binary_opIfEEE10hipError_tPvRmT1_T2_T3_mT4_P12ihipStream_tbEUlT_E0_NS1_11comp_targetILNS1_3genE3ELNS1_11target_archE908ELNS1_3gpuE7ELNS1_3repE0EEENS1_30default_config_static_selectorELNS0_4arch9wavefront6targetE0EEEvSF_, .Lfunc_end3-_ZN7rocprim17ROCPRIM_400000_NS6detail17trampoline_kernelINS0_14default_configENS1_22reduce_config_selectorI18summary_stats_dataIfEEEZNS1_11reduce_implILb1ES3_PS6_S9_S6_23summary_stats_binary_opIfEEE10hipError_tPvRmT1_T2_T3_mT4_P12ihipStream_tbEUlT_E0_NS1_11comp_targetILNS1_3genE3ELNS1_11target_archE908ELNS1_3gpuE7ELNS1_3repE0EEENS1_30default_config_static_selectorELNS0_4arch9wavefront6targetE0EEEvSF_
                                        ; -- End function
	.section	.AMDGPU.csdata,"",@progbits
; Kernel info:
; codeLenInByte = 0
; NumSgprs: 0
; NumVgprs: 0
; ScratchSize: 0
; MemoryBound: 0
; FloatMode: 240
; IeeeMode: 1
; LDSByteSize: 0 bytes/workgroup (compile time only)
; SGPRBlocks: 0
; VGPRBlocks: 0
; NumSGPRsForWavesPerEU: 1
; NumVGPRsForWavesPerEU: 1
; Occupancy: 16
; WaveLimiterHint : 0
; COMPUTE_PGM_RSRC2:SCRATCH_EN: 0
; COMPUTE_PGM_RSRC2:USER_SGPR: 15
; COMPUTE_PGM_RSRC2:TRAP_HANDLER: 0
; COMPUTE_PGM_RSRC2:TGID_X_EN: 1
; COMPUTE_PGM_RSRC2:TGID_Y_EN: 0
; COMPUTE_PGM_RSRC2:TGID_Z_EN: 0
; COMPUTE_PGM_RSRC2:TIDIG_COMP_CNT: 0
	.section	.text._ZN7rocprim17ROCPRIM_400000_NS6detail17trampoline_kernelINS0_14default_configENS1_22reduce_config_selectorI18summary_stats_dataIfEEEZNS1_11reduce_implILb1ES3_PS6_S9_S6_23summary_stats_binary_opIfEEE10hipError_tPvRmT1_T2_T3_mT4_P12ihipStream_tbEUlT_E0_NS1_11comp_targetILNS1_3genE2ELNS1_11target_archE906ELNS1_3gpuE6ELNS1_3repE0EEENS1_30default_config_static_selectorELNS0_4arch9wavefront6targetE0EEEvSF_,"axG",@progbits,_ZN7rocprim17ROCPRIM_400000_NS6detail17trampoline_kernelINS0_14default_configENS1_22reduce_config_selectorI18summary_stats_dataIfEEEZNS1_11reduce_implILb1ES3_PS6_S9_S6_23summary_stats_binary_opIfEEE10hipError_tPvRmT1_T2_T3_mT4_P12ihipStream_tbEUlT_E0_NS1_11comp_targetILNS1_3genE2ELNS1_11target_archE906ELNS1_3gpuE6ELNS1_3repE0EEENS1_30default_config_static_selectorELNS0_4arch9wavefront6targetE0EEEvSF_,comdat
	.protected	_ZN7rocprim17ROCPRIM_400000_NS6detail17trampoline_kernelINS0_14default_configENS1_22reduce_config_selectorI18summary_stats_dataIfEEEZNS1_11reduce_implILb1ES3_PS6_S9_S6_23summary_stats_binary_opIfEEE10hipError_tPvRmT1_T2_T3_mT4_P12ihipStream_tbEUlT_E0_NS1_11comp_targetILNS1_3genE2ELNS1_11target_archE906ELNS1_3gpuE6ELNS1_3repE0EEENS1_30default_config_static_selectorELNS0_4arch9wavefront6targetE0EEEvSF_ ; -- Begin function _ZN7rocprim17ROCPRIM_400000_NS6detail17trampoline_kernelINS0_14default_configENS1_22reduce_config_selectorI18summary_stats_dataIfEEEZNS1_11reduce_implILb1ES3_PS6_S9_S6_23summary_stats_binary_opIfEEE10hipError_tPvRmT1_T2_T3_mT4_P12ihipStream_tbEUlT_E0_NS1_11comp_targetILNS1_3genE2ELNS1_11target_archE906ELNS1_3gpuE6ELNS1_3repE0EEENS1_30default_config_static_selectorELNS0_4arch9wavefront6targetE0EEEvSF_
	.globl	_ZN7rocprim17ROCPRIM_400000_NS6detail17trampoline_kernelINS0_14default_configENS1_22reduce_config_selectorI18summary_stats_dataIfEEEZNS1_11reduce_implILb1ES3_PS6_S9_S6_23summary_stats_binary_opIfEEE10hipError_tPvRmT1_T2_T3_mT4_P12ihipStream_tbEUlT_E0_NS1_11comp_targetILNS1_3genE2ELNS1_11target_archE906ELNS1_3gpuE6ELNS1_3repE0EEENS1_30default_config_static_selectorELNS0_4arch9wavefront6targetE0EEEvSF_
	.p2align	8
	.type	_ZN7rocprim17ROCPRIM_400000_NS6detail17trampoline_kernelINS0_14default_configENS1_22reduce_config_selectorI18summary_stats_dataIfEEEZNS1_11reduce_implILb1ES3_PS6_S9_S6_23summary_stats_binary_opIfEEE10hipError_tPvRmT1_T2_T3_mT4_P12ihipStream_tbEUlT_E0_NS1_11comp_targetILNS1_3genE2ELNS1_11target_archE906ELNS1_3gpuE6ELNS1_3repE0EEENS1_30default_config_static_selectorELNS0_4arch9wavefront6targetE0EEEvSF_,@function
_ZN7rocprim17ROCPRIM_400000_NS6detail17trampoline_kernelINS0_14default_configENS1_22reduce_config_selectorI18summary_stats_dataIfEEEZNS1_11reduce_implILb1ES3_PS6_S9_S6_23summary_stats_binary_opIfEEE10hipError_tPvRmT1_T2_T3_mT4_P12ihipStream_tbEUlT_E0_NS1_11comp_targetILNS1_3genE2ELNS1_11target_archE906ELNS1_3gpuE6ELNS1_3repE0EEENS1_30default_config_static_selectorELNS0_4arch9wavefront6targetE0EEEvSF_: ; @_ZN7rocprim17ROCPRIM_400000_NS6detail17trampoline_kernelINS0_14default_configENS1_22reduce_config_selectorI18summary_stats_dataIfEEEZNS1_11reduce_implILb1ES3_PS6_S9_S6_23summary_stats_binary_opIfEEE10hipError_tPvRmT1_T2_T3_mT4_P12ihipStream_tbEUlT_E0_NS1_11comp_targetILNS1_3genE2ELNS1_11target_archE906ELNS1_3gpuE6ELNS1_3repE0EEENS1_30default_config_static_selectorELNS0_4arch9wavefront6targetE0EEEvSF_
; %bb.0:
	.section	.rodata,"a",@progbits
	.p2align	6, 0x0
	.amdhsa_kernel _ZN7rocprim17ROCPRIM_400000_NS6detail17trampoline_kernelINS0_14default_configENS1_22reduce_config_selectorI18summary_stats_dataIfEEEZNS1_11reduce_implILb1ES3_PS6_S9_S6_23summary_stats_binary_opIfEEE10hipError_tPvRmT1_T2_T3_mT4_P12ihipStream_tbEUlT_E0_NS1_11comp_targetILNS1_3genE2ELNS1_11target_archE906ELNS1_3gpuE6ELNS1_3repE0EEENS1_30default_config_static_selectorELNS0_4arch9wavefront6targetE0EEEvSF_
		.amdhsa_group_segment_fixed_size 0
		.amdhsa_private_segment_fixed_size 0
		.amdhsa_kernarg_size 80
		.amdhsa_user_sgpr_count 15
		.amdhsa_user_sgpr_dispatch_ptr 0
		.amdhsa_user_sgpr_queue_ptr 0
		.amdhsa_user_sgpr_kernarg_segment_ptr 1
		.amdhsa_user_sgpr_dispatch_id 0
		.amdhsa_user_sgpr_private_segment_size 0
		.amdhsa_wavefront_size32 1
		.amdhsa_uses_dynamic_stack 0
		.amdhsa_enable_private_segment 0
		.amdhsa_system_sgpr_workgroup_id_x 1
		.amdhsa_system_sgpr_workgroup_id_y 0
		.amdhsa_system_sgpr_workgroup_id_z 0
		.amdhsa_system_sgpr_workgroup_info 0
		.amdhsa_system_vgpr_workitem_id 0
		.amdhsa_next_free_vgpr 1
		.amdhsa_next_free_sgpr 1
		.amdhsa_reserve_vcc 0
		.amdhsa_float_round_mode_32 0
		.amdhsa_float_round_mode_16_64 0
		.amdhsa_float_denorm_mode_32 3
		.amdhsa_float_denorm_mode_16_64 3
		.amdhsa_dx10_clamp 1
		.amdhsa_ieee_mode 1
		.amdhsa_fp16_overflow 0
		.amdhsa_workgroup_processor_mode 1
		.amdhsa_memory_ordered 1
		.amdhsa_forward_progress 0
		.amdhsa_shared_vgpr_count 0
		.amdhsa_exception_fp_ieee_invalid_op 0
		.amdhsa_exception_fp_denorm_src 0
		.amdhsa_exception_fp_ieee_div_zero 0
		.amdhsa_exception_fp_ieee_overflow 0
		.amdhsa_exception_fp_ieee_underflow 0
		.amdhsa_exception_fp_ieee_inexact 0
		.amdhsa_exception_int_div_zero 0
	.end_amdhsa_kernel
	.section	.text._ZN7rocprim17ROCPRIM_400000_NS6detail17trampoline_kernelINS0_14default_configENS1_22reduce_config_selectorI18summary_stats_dataIfEEEZNS1_11reduce_implILb1ES3_PS6_S9_S6_23summary_stats_binary_opIfEEE10hipError_tPvRmT1_T2_T3_mT4_P12ihipStream_tbEUlT_E0_NS1_11comp_targetILNS1_3genE2ELNS1_11target_archE906ELNS1_3gpuE6ELNS1_3repE0EEENS1_30default_config_static_selectorELNS0_4arch9wavefront6targetE0EEEvSF_,"axG",@progbits,_ZN7rocprim17ROCPRIM_400000_NS6detail17trampoline_kernelINS0_14default_configENS1_22reduce_config_selectorI18summary_stats_dataIfEEEZNS1_11reduce_implILb1ES3_PS6_S9_S6_23summary_stats_binary_opIfEEE10hipError_tPvRmT1_T2_T3_mT4_P12ihipStream_tbEUlT_E0_NS1_11comp_targetILNS1_3genE2ELNS1_11target_archE906ELNS1_3gpuE6ELNS1_3repE0EEENS1_30default_config_static_selectorELNS0_4arch9wavefront6targetE0EEEvSF_,comdat
.Lfunc_end4:
	.size	_ZN7rocprim17ROCPRIM_400000_NS6detail17trampoline_kernelINS0_14default_configENS1_22reduce_config_selectorI18summary_stats_dataIfEEEZNS1_11reduce_implILb1ES3_PS6_S9_S6_23summary_stats_binary_opIfEEE10hipError_tPvRmT1_T2_T3_mT4_P12ihipStream_tbEUlT_E0_NS1_11comp_targetILNS1_3genE2ELNS1_11target_archE906ELNS1_3gpuE6ELNS1_3repE0EEENS1_30default_config_static_selectorELNS0_4arch9wavefront6targetE0EEEvSF_, .Lfunc_end4-_ZN7rocprim17ROCPRIM_400000_NS6detail17trampoline_kernelINS0_14default_configENS1_22reduce_config_selectorI18summary_stats_dataIfEEEZNS1_11reduce_implILb1ES3_PS6_S9_S6_23summary_stats_binary_opIfEEE10hipError_tPvRmT1_T2_T3_mT4_P12ihipStream_tbEUlT_E0_NS1_11comp_targetILNS1_3genE2ELNS1_11target_archE906ELNS1_3gpuE6ELNS1_3repE0EEENS1_30default_config_static_selectorELNS0_4arch9wavefront6targetE0EEEvSF_
                                        ; -- End function
	.section	.AMDGPU.csdata,"",@progbits
; Kernel info:
; codeLenInByte = 0
; NumSgprs: 0
; NumVgprs: 0
; ScratchSize: 0
; MemoryBound: 0
; FloatMode: 240
; IeeeMode: 1
; LDSByteSize: 0 bytes/workgroup (compile time only)
; SGPRBlocks: 0
; VGPRBlocks: 0
; NumSGPRsForWavesPerEU: 1
; NumVGPRsForWavesPerEU: 1
; Occupancy: 16
; WaveLimiterHint : 0
; COMPUTE_PGM_RSRC2:SCRATCH_EN: 0
; COMPUTE_PGM_RSRC2:USER_SGPR: 15
; COMPUTE_PGM_RSRC2:TRAP_HANDLER: 0
; COMPUTE_PGM_RSRC2:TGID_X_EN: 1
; COMPUTE_PGM_RSRC2:TGID_Y_EN: 0
; COMPUTE_PGM_RSRC2:TGID_Z_EN: 0
; COMPUTE_PGM_RSRC2:TIDIG_COMP_CNT: 0
	.section	.text._ZN7rocprim17ROCPRIM_400000_NS6detail17trampoline_kernelINS0_14default_configENS1_22reduce_config_selectorI18summary_stats_dataIfEEEZNS1_11reduce_implILb1ES3_PS6_S9_S6_23summary_stats_binary_opIfEEE10hipError_tPvRmT1_T2_T3_mT4_P12ihipStream_tbEUlT_E0_NS1_11comp_targetILNS1_3genE10ELNS1_11target_archE1201ELNS1_3gpuE5ELNS1_3repE0EEENS1_30default_config_static_selectorELNS0_4arch9wavefront6targetE0EEEvSF_,"axG",@progbits,_ZN7rocprim17ROCPRIM_400000_NS6detail17trampoline_kernelINS0_14default_configENS1_22reduce_config_selectorI18summary_stats_dataIfEEEZNS1_11reduce_implILb1ES3_PS6_S9_S6_23summary_stats_binary_opIfEEE10hipError_tPvRmT1_T2_T3_mT4_P12ihipStream_tbEUlT_E0_NS1_11comp_targetILNS1_3genE10ELNS1_11target_archE1201ELNS1_3gpuE5ELNS1_3repE0EEENS1_30default_config_static_selectorELNS0_4arch9wavefront6targetE0EEEvSF_,comdat
	.protected	_ZN7rocprim17ROCPRIM_400000_NS6detail17trampoline_kernelINS0_14default_configENS1_22reduce_config_selectorI18summary_stats_dataIfEEEZNS1_11reduce_implILb1ES3_PS6_S9_S6_23summary_stats_binary_opIfEEE10hipError_tPvRmT1_T2_T3_mT4_P12ihipStream_tbEUlT_E0_NS1_11comp_targetILNS1_3genE10ELNS1_11target_archE1201ELNS1_3gpuE5ELNS1_3repE0EEENS1_30default_config_static_selectorELNS0_4arch9wavefront6targetE0EEEvSF_ ; -- Begin function _ZN7rocprim17ROCPRIM_400000_NS6detail17trampoline_kernelINS0_14default_configENS1_22reduce_config_selectorI18summary_stats_dataIfEEEZNS1_11reduce_implILb1ES3_PS6_S9_S6_23summary_stats_binary_opIfEEE10hipError_tPvRmT1_T2_T3_mT4_P12ihipStream_tbEUlT_E0_NS1_11comp_targetILNS1_3genE10ELNS1_11target_archE1201ELNS1_3gpuE5ELNS1_3repE0EEENS1_30default_config_static_selectorELNS0_4arch9wavefront6targetE0EEEvSF_
	.globl	_ZN7rocprim17ROCPRIM_400000_NS6detail17trampoline_kernelINS0_14default_configENS1_22reduce_config_selectorI18summary_stats_dataIfEEEZNS1_11reduce_implILb1ES3_PS6_S9_S6_23summary_stats_binary_opIfEEE10hipError_tPvRmT1_T2_T3_mT4_P12ihipStream_tbEUlT_E0_NS1_11comp_targetILNS1_3genE10ELNS1_11target_archE1201ELNS1_3gpuE5ELNS1_3repE0EEENS1_30default_config_static_selectorELNS0_4arch9wavefront6targetE0EEEvSF_
	.p2align	8
	.type	_ZN7rocprim17ROCPRIM_400000_NS6detail17trampoline_kernelINS0_14default_configENS1_22reduce_config_selectorI18summary_stats_dataIfEEEZNS1_11reduce_implILb1ES3_PS6_S9_S6_23summary_stats_binary_opIfEEE10hipError_tPvRmT1_T2_T3_mT4_P12ihipStream_tbEUlT_E0_NS1_11comp_targetILNS1_3genE10ELNS1_11target_archE1201ELNS1_3gpuE5ELNS1_3repE0EEENS1_30default_config_static_selectorELNS0_4arch9wavefront6targetE0EEEvSF_,@function
_ZN7rocprim17ROCPRIM_400000_NS6detail17trampoline_kernelINS0_14default_configENS1_22reduce_config_selectorI18summary_stats_dataIfEEEZNS1_11reduce_implILb1ES3_PS6_S9_S6_23summary_stats_binary_opIfEEE10hipError_tPvRmT1_T2_T3_mT4_P12ihipStream_tbEUlT_E0_NS1_11comp_targetILNS1_3genE10ELNS1_11target_archE1201ELNS1_3gpuE5ELNS1_3repE0EEENS1_30default_config_static_selectorELNS0_4arch9wavefront6targetE0EEEvSF_: ; @_ZN7rocprim17ROCPRIM_400000_NS6detail17trampoline_kernelINS0_14default_configENS1_22reduce_config_selectorI18summary_stats_dataIfEEEZNS1_11reduce_implILb1ES3_PS6_S9_S6_23summary_stats_binary_opIfEEE10hipError_tPvRmT1_T2_T3_mT4_P12ihipStream_tbEUlT_E0_NS1_11comp_targetILNS1_3genE10ELNS1_11target_archE1201ELNS1_3gpuE5ELNS1_3repE0EEENS1_30default_config_static_selectorELNS0_4arch9wavefront6targetE0EEEvSF_
; %bb.0:
	.section	.rodata,"a",@progbits
	.p2align	6, 0x0
	.amdhsa_kernel _ZN7rocprim17ROCPRIM_400000_NS6detail17trampoline_kernelINS0_14default_configENS1_22reduce_config_selectorI18summary_stats_dataIfEEEZNS1_11reduce_implILb1ES3_PS6_S9_S6_23summary_stats_binary_opIfEEE10hipError_tPvRmT1_T2_T3_mT4_P12ihipStream_tbEUlT_E0_NS1_11comp_targetILNS1_3genE10ELNS1_11target_archE1201ELNS1_3gpuE5ELNS1_3repE0EEENS1_30default_config_static_selectorELNS0_4arch9wavefront6targetE0EEEvSF_
		.amdhsa_group_segment_fixed_size 0
		.amdhsa_private_segment_fixed_size 0
		.amdhsa_kernarg_size 80
		.amdhsa_user_sgpr_count 15
		.amdhsa_user_sgpr_dispatch_ptr 0
		.amdhsa_user_sgpr_queue_ptr 0
		.amdhsa_user_sgpr_kernarg_segment_ptr 1
		.amdhsa_user_sgpr_dispatch_id 0
		.amdhsa_user_sgpr_private_segment_size 0
		.amdhsa_wavefront_size32 1
		.amdhsa_uses_dynamic_stack 0
		.amdhsa_enable_private_segment 0
		.amdhsa_system_sgpr_workgroup_id_x 1
		.amdhsa_system_sgpr_workgroup_id_y 0
		.amdhsa_system_sgpr_workgroup_id_z 0
		.amdhsa_system_sgpr_workgroup_info 0
		.amdhsa_system_vgpr_workitem_id 0
		.amdhsa_next_free_vgpr 1
		.amdhsa_next_free_sgpr 1
		.amdhsa_reserve_vcc 0
		.amdhsa_float_round_mode_32 0
		.amdhsa_float_round_mode_16_64 0
		.amdhsa_float_denorm_mode_32 3
		.amdhsa_float_denorm_mode_16_64 3
		.amdhsa_dx10_clamp 1
		.amdhsa_ieee_mode 1
		.amdhsa_fp16_overflow 0
		.amdhsa_workgroup_processor_mode 1
		.amdhsa_memory_ordered 1
		.amdhsa_forward_progress 0
		.amdhsa_shared_vgpr_count 0
		.amdhsa_exception_fp_ieee_invalid_op 0
		.amdhsa_exception_fp_denorm_src 0
		.amdhsa_exception_fp_ieee_div_zero 0
		.amdhsa_exception_fp_ieee_overflow 0
		.amdhsa_exception_fp_ieee_underflow 0
		.amdhsa_exception_fp_ieee_inexact 0
		.amdhsa_exception_int_div_zero 0
	.end_amdhsa_kernel
	.section	.text._ZN7rocprim17ROCPRIM_400000_NS6detail17trampoline_kernelINS0_14default_configENS1_22reduce_config_selectorI18summary_stats_dataIfEEEZNS1_11reduce_implILb1ES3_PS6_S9_S6_23summary_stats_binary_opIfEEE10hipError_tPvRmT1_T2_T3_mT4_P12ihipStream_tbEUlT_E0_NS1_11comp_targetILNS1_3genE10ELNS1_11target_archE1201ELNS1_3gpuE5ELNS1_3repE0EEENS1_30default_config_static_selectorELNS0_4arch9wavefront6targetE0EEEvSF_,"axG",@progbits,_ZN7rocprim17ROCPRIM_400000_NS6detail17trampoline_kernelINS0_14default_configENS1_22reduce_config_selectorI18summary_stats_dataIfEEEZNS1_11reduce_implILb1ES3_PS6_S9_S6_23summary_stats_binary_opIfEEE10hipError_tPvRmT1_T2_T3_mT4_P12ihipStream_tbEUlT_E0_NS1_11comp_targetILNS1_3genE10ELNS1_11target_archE1201ELNS1_3gpuE5ELNS1_3repE0EEENS1_30default_config_static_selectorELNS0_4arch9wavefront6targetE0EEEvSF_,comdat
.Lfunc_end5:
	.size	_ZN7rocprim17ROCPRIM_400000_NS6detail17trampoline_kernelINS0_14default_configENS1_22reduce_config_selectorI18summary_stats_dataIfEEEZNS1_11reduce_implILb1ES3_PS6_S9_S6_23summary_stats_binary_opIfEEE10hipError_tPvRmT1_T2_T3_mT4_P12ihipStream_tbEUlT_E0_NS1_11comp_targetILNS1_3genE10ELNS1_11target_archE1201ELNS1_3gpuE5ELNS1_3repE0EEENS1_30default_config_static_selectorELNS0_4arch9wavefront6targetE0EEEvSF_, .Lfunc_end5-_ZN7rocprim17ROCPRIM_400000_NS6detail17trampoline_kernelINS0_14default_configENS1_22reduce_config_selectorI18summary_stats_dataIfEEEZNS1_11reduce_implILb1ES3_PS6_S9_S6_23summary_stats_binary_opIfEEE10hipError_tPvRmT1_T2_T3_mT4_P12ihipStream_tbEUlT_E0_NS1_11comp_targetILNS1_3genE10ELNS1_11target_archE1201ELNS1_3gpuE5ELNS1_3repE0EEENS1_30default_config_static_selectorELNS0_4arch9wavefront6targetE0EEEvSF_
                                        ; -- End function
	.section	.AMDGPU.csdata,"",@progbits
; Kernel info:
; codeLenInByte = 0
; NumSgprs: 0
; NumVgprs: 0
; ScratchSize: 0
; MemoryBound: 0
; FloatMode: 240
; IeeeMode: 1
; LDSByteSize: 0 bytes/workgroup (compile time only)
; SGPRBlocks: 0
; VGPRBlocks: 0
; NumSGPRsForWavesPerEU: 1
; NumVGPRsForWavesPerEU: 1
; Occupancy: 16
; WaveLimiterHint : 0
; COMPUTE_PGM_RSRC2:SCRATCH_EN: 0
; COMPUTE_PGM_RSRC2:USER_SGPR: 15
; COMPUTE_PGM_RSRC2:TRAP_HANDLER: 0
; COMPUTE_PGM_RSRC2:TGID_X_EN: 1
; COMPUTE_PGM_RSRC2:TGID_Y_EN: 0
; COMPUTE_PGM_RSRC2:TGID_Z_EN: 0
; COMPUTE_PGM_RSRC2:TIDIG_COMP_CNT: 0
	.section	.text._ZN7rocprim17ROCPRIM_400000_NS6detail17trampoline_kernelINS0_14default_configENS1_22reduce_config_selectorI18summary_stats_dataIfEEEZNS1_11reduce_implILb1ES3_PS6_S9_S6_23summary_stats_binary_opIfEEE10hipError_tPvRmT1_T2_T3_mT4_P12ihipStream_tbEUlT_E0_NS1_11comp_targetILNS1_3genE10ELNS1_11target_archE1200ELNS1_3gpuE4ELNS1_3repE0EEENS1_30default_config_static_selectorELNS0_4arch9wavefront6targetE0EEEvSF_,"axG",@progbits,_ZN7rocprim17ROCPRIM_400000_NS6detail17trampoline_kernelINS0_14default_configENS1_22reduce_config_selectorI18summary_stats_dataIfEEEZNS1_11reduce_implILb1ES3_PS6_S9_S6_23summary_stats_binary_opIfEEE10hipError_tPvRmT1_T2_T3_mT4_P12ihipStream_tbEUlT_E0_NS1_11comp_targetILNS1_3genE10ELNS1_11target_archE1200ELNS1_3gpuE4ELNS1_3repE0EEENS1_30default_config_static_selectorELNS0_4arch9wavefront6targetE0EEEvSF_,comdat
	.protected	_ZN7rocprim17ROCPRIM_400000_NS6detail17trampoline_kernelINS0_14default_configENS1_22reduce_config_selectorI18summary_stats_dataIfEEEZNS1_11reduce_implILb1ES3_PS6_S9_S6_23summary_stats_binary_opIfEEE10hipError_tPvRmT1_T2_T3_mT4_P12ihipStream_tbEUlT_E0_NS1_11comp_targetILNS1_3genE10ELNS1_11target_archE1200ELNS1_3gpuE4ELNS1_3repE0EEENS1_30default_config_static_selectorELNS0_4arch9wavefront6targetE0EEEvSF_ ; -- Begin function _ZN7rocprim17ROCPRIM_400000_NS6detail17trampoline_kernelINS0_14default_configENS1_22reduce_config_selectorI18summary_stats_dataIfEEEZNS1_11reduce_implILb1ES3_PS6_S9_S6_23summary_stats_binary_opIfEEE10hipError_tPvRmT1_T2_T3_mT4_P12ihipStream_tbEUlT_E0_NS1_11comp_targetILNS1_3genE10ELNS1_11target_archE1200ELNS1_3gpuE4ELNS1_3repE0EEENS1_30default_config_static_selectorELNS0_4arch9wavefront6targetE0EEEvSF_
	.globl	_ZN7rocprim17ROCPRIM_400000_NS6detail17trampoline_kernelINS0_14default_configENS1_22reduce_config_selectorI18summary_stats_dataIfEEEZNS1_11reduce_implILb1ES3_PS6_S9_S6_23summary_stats_binary_opIfEEE10hipError_tPvRmT1_T2_T3_mT4_P12ihipStream_tbEUlT_E0_NS1_11comp_targetILNS1_3genE10ELNS1_11target_archE1200ELNS1_3gpuE4ELNS1_3repE0EEENS1_30default_config_static_selectorELNS0_4arch9wavefront6targetE0EEEvSF_
	.p2align	8
	.type	_ZN7rocprim17ROCPRIM_400000_NS6detail17trampoline_kernelINS0_14default_configENS1_22reduce_config_selectorI18summary_stats_dataIfEEEZNS1_11reduce_implILb1ES3_PS6_S9_S6_23summary_stats_binary_opIfEEE10hipError_tPvRmT1_T2_T3_mT4_P12ihipStream_tbEUlT_E0_NS1_11comp_targetILNS1_3genE10ELNS1_11target_archE1200ELNS1_3gpuE4ELNS1_3repE0EEENS1_30default_config_static_selectorELNS0_4arch9wavefront6targetE0EEEvSF_,@function
_ZN7rocprim17ROCPRIM_400000_NS6detail17trampoline_kernelINS0_14default_configENS1_22reduce_config_selectorI18summary_stats_dataIfEEEZNS1_11reduce_implILb1ES3_PS6_S9_S6_23summary_stats_binary_opIfEEE10hipError_tPvRmT1_T2_T3_mT4_P12ihipStream_tbEUlT_E0_NS1_11comp_targetILNS1_3genE10ELNS1_11target_archE1200ELNS1_3gpuE4ELNS1_3repE0EEENS1_30default_config_static_selectorELNS0_4arch9wavefront6targetE0EEEvSF_: ; @_ZN7rocprim17ROCPRIM_400000_NS6detail17trampoline_kernelINS0_14default_configENS1_22reduce_config_selectorI18summary_stats_dataIfEEEZNS1_11reduce_implILb1ES3_PS6_S9_S6_23summary_stats_binary_opIfEEE10hipError_tPvRmT1_T2_T3_mT4_P12ihipStream_tbEUlT_E0_NS1_11comp_targetILNS1_3genE10ELNS1_11target_archE1200ELNS1_3gpuE4ELNS1_3repE0EEENS1_30default_config_static_selectorELNS0_4arch9wavefront6targetE0EEEvSF_
; %bb.0:
	.section	.rodata,"a",@progbits
	.p2align	6, 0x0
	.amdhsa_kernel _ZN7rocprim17ROCPRIM_400000_NS6detail17trampoline_kernelINS0_14default_configENS1_22reduce_config_selectorI18summary_stats_dataIfEEEZNS1_11reduce_implILb1ES3_PS6_S9_S6_23summary_stats_binary_opIfEEE10hipError_tPvRmT1_T2_T3_mT4_P12ihipStream_tbEUlT_E0_NS1_11comp_targetILNS1_3genE10ELNS1_11target_archE1200ELNS1_3gpuE4ELNS1_3repE0EEENS1_30default_config_static_selectorELNS0_4arch9wavefront6targetE0EEEvSF_
		.amdhsa_group_segment_fixed_size 0
		.amdhsa_private_segment_fixed_size 0
		.amdhsa_kernarg_size 80
		.amdhsa_user_sgpr_count 15
		.amdhsa_user_sgpr_dispatch_ptr 0
		.amdhsa_user_sgpr_queue_ptr 0
		.amdhsa_user_sgpr_kernarg_segment_ptr 1
		.amdhsa_user_sgpr_dispatch_id 0
		.amdhsa_user_sgpr_private_segment_size 0
		.amdhsa_wavefront_size32 1
		.amdhsa_uses_dynamic_stack 0
		.amdhsa_enable_private_segment 0
		.amdhsa_system_sgpr_workgroup_id_x 1
		.amdhsa_system_sgpr_workgroup_id_y 0
		.amdhsa_system_sgpr_workgroup_id_z 0
		.amdhsa_system_sgpr_workgroup_info 0
		.amdhsa_system_vgpr_workitem_id 0
		.amdhsa_next_free_vgpr 1
		.amdhsa_next_free_sgpr 1
		.amdhsa_reserve_vcc 0
		.amdhsa_float_round_mode_32 0
		.amdhsa_float_round_mode_16_64 0
		.amdhsa_float_denorm_mode_32 3
		.amdhsa_float_denorm_mode_16_64 3
		.amdhsa_dx10_clamp 1
		.amdhsa_ieee_mode 1
		.amdhsa_fp16_overflow 0
		.amdhsa_workgroup_processor_mode 1
		.amdhsa_memory_ordered 1
		.amdhsa_forward_progress 0
		.amdhsa_shared_vgpr_count 0
		.amdhsa_exception_fp_ieee_invalid_op 0
		.amdhsa_exception_fp_denorm_src 0
		.amdhsa_exception_fp_ieee_div_zero 0
		.amdhsa_exception_fp_ieee_overflow 0
		.amdhsa_exception_fp_ieee_underflow 0
		.amdhsa_exception_fp_ieee_inexact 0
		.amdhsa_exception_int_div_zero 0
	.end_amdhsa_kernel
	.section	.text._ZN7rocprim17ROCPRIM_400000_NS6detail17trampoline_kernelINS0_14default_configENS1_22reduce_config_selectorI18summary_stats_dataIfEEEZNS1_11reduce_implILb1ES3_PS6_S9_S6_23summary_stats_binary_opIfEEE10hipError_tPvRmT1_T2_T3_mT4_P12ihipStream_tbEUlT_E0_NS1_11comp_targetILNS1_3genE10ELNS1_11target_archE1200ELNS1_3gpuE4ELNS1_3repE0EEENS1_30default_config_static_selectorELNS0_4arch9wavefront6targetE0EEEvSF_,"axG",@progbits,_ZN7rocprim17ROCPRIM_400000_NS6detail17trampoline_kernelINS0_14default_configENS1_22reduce_config_selectorI18summary_stats_dataIfEEEZNS1_11reduce_implILb1ES3_PS6_S9_S6_23summary_stats_binary_opIfEEE10hipError_tPvRmT1_T2_T3_mT4_P12ihipStream_tbEUlT_E0_NS1_11comp_targetILNS1_3genE10ELNS1_11target_archE1200ELNS1_3gpuE4ELNS1_3repE0EEENS1_30default_config_static_selectorELNS0_4arch9wavefront6targetE0EEEvSF_,comdat
.Lfunc_end6:
	.size	_ZN7rocprim17ROCPRIM_400000_NS6detail17trampoline_kernelINS0_14default_configENS1_22reduce_config_selectorI18summary_stats_dataIfEEEZNS1_11reduce_implILb1ES3_PS6_S9_S6_23summary_stats_binary_opIfEEE10hipError_tPvRmT1_T2_T3_mT4_P12ihipStream_tbEUlT_E0_NS1_11comp_targetILNS1_3genE10ELNS1_11target_archE1200ELNS1_3gpuE4ELNS1_3repE0EEENS1_30default_config_static_selectorELNS0_4arch9wavefront6targetE0EEEvSF_, .Lfunc_end6-_ZN7rocprim17ROCPRIM_400000_NS6detail17trampoline_kernelINS0_14default_configENS1_22reduce_config_selectorI18summary_stats_dataIfEEEZNS1_11reduce_implILb1ES3_PS6_S9_S6_23summary_stats_binary_opIfEEE10hipError_tPvRmT1_T2_T3_mT4_P12ihipStream_tbEUlT_E0_NS1_11comp_targetILNS1_3genE10ELNS1_11target_archE1200ELNS1_3gpuE4ELNS1_3repE0EEENS1_30default_config_static_selectorELNS0_4arch9wavefront6targetE0EEEvSF_
                                        ; -- End function
	.section	.AMDGPU.csdata,"",@progbits
; Kernel info:
; codeLenInByte = 0
; NumSgprs: 0
; NumVgprs: 0
; ScratchSize: 0
; MemoryBound: 0
; FloatMode: 240
; IeeeMode: 1
; LDSByteSize: 0 bytes/workgroup (compile time only)
; SGPRBlocks: 0
; VGPRBlocks: 0
; NumSGPRsForWavesPerEU: 1
; NumVGPRsForWavesPerEU: 1
; Occupancy: 16
; WaveLimiterHint : 0
; COMPUTE_PGM_RSRC2:SCRATCH_EN: 0
; COMPUTE_PGM_RSRC2:USER_SGPR: 15
; COMPUTE_PGM_RSRC2:TRAP_HANDLER: 0
; COMPUTE_PGM_RSRC2:TGID_X_EN: 1
; COMPUTE_PGM_RSRC2:TGID_Y_EN: 0
; COMPUTE_PGM_RSRC2:TGID_Z_EN: 0
; COMPUTE_PGM_RSRC2:TIDIG_COMP_CNT: 0
	.section	.text._ZN7rocprim17ROCPRIM_400000_NS6detail17trampoline_kernelINS0_14default_configENS1_22reduce_config_selectorI18summary_stats_dataIfEEEZNS1_11reduce_implILb1ES3_PS6_S9_S6_23summary_stats_binary_opIfEEE10hipError_tPvRmT1_T2_T3_mT4_P12ihipStream_tbEUlT_E0_NS1_11comp_targetILNS1_3genE9ELNS1_11target_archE1100ELNS1_3gpuE3ELNS1_3repE0EEENS1_30default_config_static_selectorELNS0_4arch9wavefront6targetE0EEEvSF_,"axG",@progbits,_ZN7rocprim17ROCPRIM_400000_NS6detail17trampoline_kernelINS0_14default_configENS1_22reduce_config_selectorI18summary_stats_dataIfEEEZNS1_11reduce_implILb1ES3_PS6_S9_S6_23summary_stats_binary_opIfEEE10hipError_tPvRmT1_T2_T3_mT4_P12ihipStream_tbEUlT_E0_NS1_11comp_targetILNS1_3genE9ELNS1_11target_archE1100ELNS1_3gpuE3ELNS1_3repE0EEENS1_30default_config_static_selectorELNS0_4arch9wavefront6targetE0EEEvSF_,comdat
	.protected	_ZN7rocprim17ROCPRIM_400000_NS6detail17trampoline_kernelINS0_14default_configENS1_22reduce_config_selectorI18summary_stats_dataIfEEEZNS1_11reduce_implILb1ES3_PS6_S9_S6_23summary_stats_binary_opIfEEE10hipError_tPvRmT1_T2_T3_mT4_P12ihipStream_tbEUlT_E0_NS1_11comp_targetILNS1_3genE9ELNS1_11target_archE1100ELNS1_3gpuE3ELNS1_3repE0EEENS1_30default_config_static_selectorELNS0_4arch9wavefront6targetE0EEEvSF_ ; -- Begin function _ZN7rocprim17ROCPRIM_400000_NS6detail17trampoline_kernelINS0_14default_configENS1_22reduce_config_selectorI18summary_stats_dataIfEEEZNS1_11reduce_implILb1ES3_PS6_S9_S6_23summary_stats_binary_opIfEEE10hipError_tPvRmT1_T2_T3_mT4_P12ihipStream_tbEUlT_E0_NS1_11comp_targetILNS1_3genE9ELNS1_11target_archE1100ELNS1_3gpuE3ELNS1_3repE0EEENS1_30default_config_static_selectorELNS0_4arch9wavefront6targetE0EEEvSF_
	.globl	_ZN7rocprim17ROCPRIM_400000_NS6detail17trampoline_kernelINS0_14default_configENS1_22reduce_config_selectorI18summary_stats_dataIfEEEZNS1_11reduce_implILb1ES3_PS6_S9_S6_23summary_stats_binary_opIfEEE10hipError_tPvRmT1_T2_T3_mT4_P12ihipStream_tbEUlT_E0_NS1_11comp_targetILNS1_3genE9ELNS1_11target_archE1100ELNS1_3gpuE3ELNS1_3repE0EEENS1_30default_config_static_selectorELNS0_4arch9wavefront6targetE0EEEvSF_
	.p2align	8
	.type	_ZN7rocprim17ROCPRIM_400000_NS6detail17trampoline_kernelINS0_14default_configENS1_22reduce_config_selectorI18summary_stats_dataIfEEEZNS1_11reduce_implILb1ES3_PS6_S9_S6_23summary_stats_binary_opIfEEE10hipError_tPvRmT1_T2_T3_mT4_P12ihipStream_tbEUlT_E0_NS1_11comp_targetILNS1_3genE9ELNS1_11target_archE1100ELNS1_3gpuE3ELNS1_3repE0EEENS1_30default_config_static_selectorELNS0_4arch9wavefront6targetE0EEEvSF_,@function
_ZN7rocprim17ROCPRIM_400000_NS6detail17trampoline_kernelINS0_14default_configENS1_22reduce_config_selectorI18summary_stats_dataIfEEEZNS1_11reduce_implILb1ES3_PS6_S9_S6_23summary_stats_binary_opIfEEE10hipError_tPvRmT1_T2_T3_mT4_P12ihipStream_tbEUlT_E0_NS1_11comp_targetILNS1_3genE9ELNS1_11target_archE1100ELNS1_3gpuE3ELNS1_3repE0EEENS1_30default_config_static_selectorELNS0_4arch9wavefront6targetE0EEEvSF_: ; @_ZN7rocprim17ROCPRIM_400000_NS6detail17trampoline_kernelINS0_14default_configENS1_22reduce_config_selectorI18summary_stats_dataIfEEEZNS1_11reduce_implILb1ES3_PS6_S9_S6_23summary_stats_binary_opIfEEE10hipError_tPvRmT1_T2_T3_mT4_P12ihipStream_tbEUlT_E0_NS1_11comp_targetILNS1_3genE9ELNS1_11target_archE1100ELNS1_3gpuE3ELNS1_3repE0EEENS1_30default_config_static_selectorELNS0_4arch9wavefront6targetE0EEEvSF_
; %bb.0:
	s_mov_b32 s24, s15
	s_clause 0x2
	s_load_b256 s[4:11], s[0:1], 0x0
	s_load_b256 s[12:19], s[0:1], 0x20
	s_load_b128 s[20:23], s[0:1], 0x40
	s_mul_i32 s2, s24, 0x3800
	v_mbcnt_lo_u32_b32 v15, -1, 0
	s_mov_b32 s25, 0
	s_waitcnt lgkmcnt(0)
	s_mul_i32 s0, s7, 28
	s_mul_hi_u32 s1, s6, 28
	s_mul_i32 s3, s6, 28
	s_add_i32 s1, s1, s0
	s_add_u32 s3, s4, s3
	s_addc_u32 s4, s5, s1
	s_lshl_b32 s7, s24, 9
	s_lshr_b64 s[0:1], s[8:9], 9
	s_mul_hi_u32 s5, s7, 28
	s_add_u32 s26, s3, s2
	s_addc_u32 s27, s4, s5
	s_cmp_lg_u64 s[0:1], s[24:25]
	s_cbranch_scc0 .LBB7_6
; %bb.1:
	v_mad_u64_u32 v[10:11], null, v0, 28, s[26:27]
	s_delay_alu instid0(VALU_DEP_1) | instskip(NEXT) | instid1(VALU_DEP_2)
	v_add_co_u32 v5, vcc_lo, 0x1000, v10
	v_add_co_ci_u32_e32 v6, vcc_lo, 0, v11, vcc_lo
	v_add_co_u32 v12, vcc_lo, 0x1c00, v10
	s_clause 0x1
	global_load_b128 v[1:4], v[10:11], off
	global_load_b128 v[6:9], v[5:6], off offset:3072
	v_add_co_ci_u32_e32 v13, vcc_lo, 0, v11, vcc_lo
	s_clause 0x1
	global_load_b96 v[17:19], v[10:11], off offset:16
	global_load_b96 v[22:24], v[12:13], off offset:16
	s_waitcnt vmcnt(2)
	v_cmp_lt_f32_e32 vcc_lo, v7, v2
	v_add_f32_e32 v5, v1, v6
	v_dual_sub_f32 v9, v9, v4 :: v_dual_mul_f32 v14, v6, v6
	v_dual_sub_f32 v13, v1, v6 :: v_dual_cndmask_b32 v2, v2, v7
	v_cmp_lt_f32_e32 vcc_lo, v3, v8
	v_mul_f32_e32 v10, v1, v1
	s_waitcnt vmcnt(0)
	v_dual_add_f32 v12, v17, v22 :: v_dual_add_f32 v11, v18, v23
	v_cndmask_b32_e32 v7, v3, v8, vcc_lo
	s_delay_alu instid0(VALU_DEP_3) | instskip(SKIP_2) | instid1(VALU_DEP_3)
	v_fma_f32 v25, -v1, v6, v10
	v_mul_f32_e32 v16, v5, v5
	v_dual_mul_f32 v3, v17, v6 :: v_dual_add_f32 v8, v19, v24
	v_dual_mul_f32 v24, 0x40400000, v9 :: v_dual_fmac_f32 v25, v6, v6
	s_delay_alu instid0(VALU_DEP_3) | instskip(SKIP_3) | instid1(VALU_DEP_4)
	v_dual_mul_f32 v18, v18, v6 :: v_dual_mul_f32 v19, v5, v16
	v_mul_f32_e32 v10, v10, v22
	v_mul_f32_e32 v21, v6, v9
	v_fma_f32 v3, v1, v22, -v3
	v_fma_f32 v18, v1, v23, -v18
	v_mov_b32_dpp v23, v2 quad_perm:[1,0,3,2] row_mask:0xf bank_mask:0xf
	v_fmac_f32_e32 v10, v17, v14
	v_mov_b32_dpp v14, v5 quad_perm:[1,0,3,2] row_mask:0xf bank_mask:0xf
	v_mul_f32_e32 v20, v9, v9
	v_mov_b32_dpp v26, v7 quad_perm:[1,0,3,2] row_mask:0xf bank_mask:0xf
	v_cmp_lt_f32_e64 s0, v2, v23
	v_mul_f32_e32 v17, 4.0, v9
	v_dual_mul_f32 v33, v14, v14 :: v_dual_mul_f32 v22, v24, v3
	v_add_f32_e32 v3, v5, v14
	v_mul_f32_e32 v28, v9, v20
	v_cndmask_b32_e64 v2, v23, v2, s0
	v_cmp_gt_f32_e64 s0, v7, v26
	s_delay_alu instid0(VALU_DEP_4) | instskip(SKIP_2) | instid1(VALU_DEP_4)
	v_dual_mul_f32 v18, v17, v18 :: v_dual_mul_f32 v17, v3, v3
	v_sub_f32_e32 v24, v14, v5
	v_div_scale_f32 v27, null, v5, v5, v21
	v_cndmask_b32_e64 v23, v26, v7, s0
	v_mul_f32_e32 v7, v9, v28
	v_mul_f32_e32 v9, v1, v28
	;; [unrolled: 1-line block ×4, first 2 shown]
	v_mov_b32_dpp v26, v23 quad_perm:[2,3,0,1] row_mask:0xf bank_mask:0xf
	v_mul_f32_e32 v1, v1, v7
	v_rcp_f32_e32 v42, v27
	v_fma_f32 v31, -v5, v14, v33
	v_mul_f32_e32 v34, v20, v10
	v_mov_b32_dpp v10, v2 quad_perm:[2,3,0,1] row_mask:0xf bank_mask:0xf
	v_mov_b32_dpp v20, v3 quad_perm:[2,3,0,1] row_mask:0xf bank_mask:0xf
	v_mul_f32_e32 v9, v6, v9
	v_dual_mul_f32 v38, v6, v30 :: v_dual_fmac_f32 v31, v5, v5
	s_delay_alu instid0(VALU_DEP_4) | instskip(SKIP_1) | instid1(VALU_DEP_3)
	v_cmp_lt_f32_e64 s4, v2, v10
	v_div_scale_f32 v43, null, v5, v5, v22
	v_div_scale_f32 v47, null, v5, v5, v38
	s_delay_alu instid0(VALU_DEP_3) | instskip(SKIP_4) | instid1(VALU_DEP_4)
	v_cndmask_b32_e64 v2, v10, v2, s4
	v_cmp_gt_f32_e64 s4, v23, v26
	v_add_f32_e32 v7, v3, v20
	v_div_scale_f32 v40, null, v5, v5, v18
	v_mul_f32_e32 v54, v13, v9
	v_cndmask_b32_e64 v10, v26, v23, s4
	s_delay_alu instid0(VALU_DEP_4)
	v_mul_f32_e32 v23, v7, v7
	v_mov_b32_dpp v9, v2 row_ror:4 row_mask:0xf bank_mask:0xf
	v_rcp_f32_e32 v49, v43
	v_rcp_f32_e32 v52, v40
	v_fma_f32 v28, -v27, v42, 1.0
	v_rcp_f32_e32 v53, v47
	v_mov_b32_dpp v13, v10 row_ror:4 row_mask:0xf bank_mask:0xf
	v_cmp_lt_f32_e64 s5, v2, v9
	v_div_scale_f32 v29, vcc_lo, v21, v5, v21
	v_dual_sub_f32 v32, v20, v3 :: v_dual_mul_f32 v1, v6, v1
	v_mov_b32_dpp v26, v7 row_ror:4 row_mask:0xf bank_mask:0xf
	v_dual_fmac_f32 v42, v28, v42 :: v_dual_mul_f32 v35, v7, v23
	v_cndmask_b32_e64 v9, v9, v2, s5
	v_cmp_gt_f32_e64 s5, v10, v13
	v_div_scale_f32 v56, null, v16, v16, v54
	v_fma_f32 v28, -v43, v49, 1.0
	v_dual_mul_f32 v58, v25, v1 :: v_dual_sub_f32 v37, v26, v7
	v_fma_f32 v1, -v40, v52, 1.0
	s_delay_alu instid0(VALU_DEP_3)
	v_dual_add_f32 v6, v7, v26 :: v_dual_fmac_f32 v49, v28, v49
	v_cndmask_b32_e64 v2, v13, v10, s5
	v_fma_f32 v10, -v47, v53, 1.0
	v_mul_f32_e32 v60, v29, v42
	v_div_scale_f32 v41, s0, v18, v5, v18
	v_div_scale_f32 v48, s3, v38, v5, v38
	s_delay_alu instid0(VALU_DEP_4)
	v_fmac_f32_e32 v53, v10, v53
	v_rcp_f32_e32 v61, v56
	v_div_scale_f32 v62, null, v19, v19, v58
	v_mov_b32_dpp v25, v6 row_ror:8 row_mask:0xf bank_mask:0xf
	v_fmac_f32_e32 v52, v1, v52
	v_fma_f32 v65, -v27, v60, v29
	v_mov_b32_dpp v46, v9 row_ror:8 row_mask:0xf bank_mask:0xf
	v_rcp_f32_e32 v67, v62
	s_delay_alu instid0(VALU_DEP_3) | instskip(NEXT) | instid1(VALU_DEP_3)
	v_dual_add_f32 v1, v6, v25 :: v_dual_mul_f32 v68, v41, v52
	v_dual_fmac_f32 v60, v65, v42 :: v_dual_mul_f32 v65, v48, v53
	v_div_scale_f32 v50, null, v16, v16, v34
	v_cmp_lt_f32_e64 s6, v9, v46
	v_fma_f32 v70, -v56, v61, 1.0
	s_delay_alu instid0(VALU_DEP_4) | instskip(NEXT) | instid1(VALU_DEP_4)
	v_fma_f32 v75, -v47, v65, v48
	v_rcp_f32_e32 v55, v50
	v_div_scale_f32 v44, s1, v22, v5, v22
	v_cndmask_b32_e64 v9, v46, v9, s6
	s_delay_alu instid0(VALU_DEP_3)
	v_dual_fmac_f32 v65, v75, v53 :: v_dual_sub_f32 v46, v25, v6
	v_fmac_f32_e32 v61, v70, v61
	v_fma_f32 v29, -v27, v60, v29
	v_fma_f32 v70, -v62, v67, 1.0
	v_div_scale_f32 v63, s5, v58, v19, v58
	v_fma_f32 v73, -v40, v68, v41
	s_delay_alu instid0(VALU_DEP_3)
	v_dual_mul_f32 v10, v1, v1 :: v_dual_fmac_f32 v67, v70, v67
	v_div_fmas_f32 v29, v29, v42, v60
	v_fma_f32 v45, -v50, v55, 1.0
	v_mul_f32_e32 v28, v6, v6
	v_mul_f32_e32 v66, v44, v49
	v_fmac_f32_e32 v68, v73, v52
	v_div_fixup_f32 v21, v29, v5, v21
	v_fma_f32 v29, -v47, v65, v48
	v_mul_f32_e32 v47, v63, v67
	v_fmac_f32_e32 v55, v45, v55
	v_mul_f32_e32 v45, v6, v28
	v_fma_f32 v71, -v43, v66, v44
	v_fma_f32 v40, -v40, v68, v41
	;; [unrolled: 1-line block ×3, first 2 shown]
	v_add_f32_e32 v4, v4, v21
	v_div_scale_f32 v57, s4, v54, v16, v54
	s_delay_alu instid0(VALU_DEP_3) | instskip(NEXT) | instid1(VALU_DEP_3)
	v_dual_fmac_f32 v66, v71, v49 :: v_dual_fmac_f32 v47, v41, v67
	v_mov_b32_dpp v41, v4 quad_perm:[1,0,3,2] row_mask:0xf bank_mask:0xf
	v_dual_mul_f32 v30, v3, v17 :: v_dual_mul_f32 v39, v20, v20
	s_delay_alu instid0(VALU_DEP_3) | instskip(SKIP_1) | instid1(VALU_DEP_3)
	v_fma_f32 v43, -v43, v66, v44
	s_mov_b32 vcc_lo, s3
	v_sub_f32_e32 v4, v4, v41
	v_mul_f32_e32 v42, v57, v61
	v_fma_f32 v36, -v3, v20, v39
	v_div_fmas_f32 v29, v29, v53, v65
	v_div_scale_f32 v51, s2, v34, v16, v34
	s_delay_alu instid0(VALU_DEP_4) | instskip(NEXT) | instid1(VALU_DEP_4)
	v_fma_f32 v44, -v56, v42, v57
	v_dual_fmac_f32 v36, v3, v3 :: v_dual_mul_f32 v59, v26, v26
	s_delay_alu instid0(VALU_DEP_4) | instskip(SKIP_1) | instid1(VALU_DEP_3)
	v_div_fixup_f32 v21, v29, v5, v38
	s_mov_b32 vcc_lo, s4
	v_fmac_f32_e32 v42, v44, v61
	v_dual_mul_f32 v72, v51, v55 :: v_dual_mul_f32 v27, v1, v10
	v_fma_f32 v64, -v7, v26, v59
	v_add_f32_e32 v12, v12, v21
	s_delay_alu instid0(VALU_DEP_4)
	v_fma_f32 v38, -v56, v42, v57
	v_mul_f32_e32 v69, v25, v25
	v_fma_f32 v71, -v50, v72, v51
	v_fmac_f32_e32 v64, v7, v7
	v_mov_b32_dpp v13, v2 row_ror:8 row_mask:0xf bank_mask:0xf
	v_div_fmas_f32 v21, v38, v61, v42
	v_fma_f32 v74, -v6, v25, v69
	v_fma_f32 v38, -v62, v47, v63
	s_mov_b32 vcc_lo, s1
	s_delay_alu instid0(VALU_DEP_3) | instskip(SKIP_3) | instid1(VALU_DEP_3)
	v_div_fixup_f32 v21, v21, v16, v54
	v_mul_f32_e32 v44, v4, v4
	v_div_fmas_f32 v42, v43, v49, v66
	s_mov_b32 vcc_lo, s5
	v_dual_fmac_f32 v74, v6, v6 :: v_dual_add_f32 v11, v11, v21
	s_delay_alu instid0(VALU_DEP_3) | instskip(SKIP_3) | instid1(VALU_DEP_3)
	v_dual_fmac_f32 v72, v71, v55 :: v_dual_mul_f32 v21, v4, v44
	v_div_fmas_f32 v38, v38, v67, v47
	v_mul_f32_e32 v47, v5, v4
	s_mov_b32 vcc_lo, s2
	v_fma_f32 v29, -v50, v72, v51
	v_mov_b32_dpp v43, v12 quad_perm:[1,0,3,2] row_mask:0xf bank_mask:0xf
	v_div_fixup_f32 v19, v38, v19, v58
	v_div_scale_f32 v38, null, v3, v3, v47
	s_delay_alu instid0(VALU_DEP_4)
	v_div_fmas_f32 v29, v29, v55, v72
	s_mov_b32 vcc_lo, s0
	v_add_f32_e32 v50, v12, v43
	v_div_fmas_f32 v40, v40, v52, v68
	v_dual_mul_f32 v51, v44, v14 :: v_dual_mul_f32 v52, v5, v43
	v_dual_mul_f32 v44, 0x40c00000, v44 :: v_dual_mul_f32 v43, v16, v43
	v_div_fixup_f32 v16, v29, v16, v34
	v_add_f32_e32 v8, v8, v19
	v_rcp_f32_e32 v19, v38
	v_div_fixup_f32 v22, v42, v5, v22
	v_div_fixup_f32 v18, v40, v5, v18
	v_div_scale_f32 v42, vcc_lo, v47, v3, v47
	s_delay_alu instid0(VALU_DEP_3) | instskip(NEXT) | instid1(VALU_DEP_1)
	v_dual_add_f32 v8, v16, v8 :: v_dual_add_f32 v11, v22, v11
	v_add_f32_e32 v8, v18, v8
	s_waitcnt_depctr 0xfff
	v_fma_f32 v18, -v38, v19, 1.0
	s_delay_alu instid0(VALU_DEP_1) | instskip(SKIP_3) | instid1(VALU_DEP_3)
	v_fmac_f32_e32 v19, v18, v19
	v_dual_mul_f32 v22, v5, v51 :: v_dual_fmac_f32 v43, v12, v33
	v_fma_f32 v29, v12, v14, -v52
	v_mov_b32_dpp v12, v11 quad_perm:[1,0,3,2] row_mask:0xf bank_mask:0xf
	v_div_scale_f32 v16, null, v3, v3, v22
	s_delay_alu instid0(VALU_DEP_2)
	v_dual_mul_f32 v34, v44, v43 :: v_dual_add_f32 v43, v11, v12
	v_mul_f32_e32 v48, 0x40400000, v4
	v_dual_mul_f32 v49, 4.0, v4 :: v_dual_mul_f32 v4, v4, v21
	v_mul_f32_e32 v21, v21, v14
	v_div_scale_f32 v33, s0, v22, v3, v22
	v_rcp_f32_e32 v40, v16
	s_delay_alu instid0(VALU_DEP_2) | instskip(NEXT) | instid1(VALU_DEP_1)
	v_dual_mul_f32 v4, v4, v14 :: v_dual_mul_f32 v21, v5, v21
	v_dual_mul_f32 v29, v48, v29 :: v_dual_mul_f32 v4, v5, v4
	s_delay_alu instid0(VALU_DEP_2) | instskip(NEXT) | instid1(VALU_DEP_2)
	v_mul_f32_e32 v21, v24, v21
	v_div_scale_f32 v24, null, v3, v3, v29
	v_mul_f32_e32 v5, v5, v12
	v_div_scale_f32 v44, s1, v29, v3, v29
	s_delay_alu instid0(VALU_DEP_3) | instskip(SKIP_1) | instid1(VALU_DEP_3)
	v_rcp_f32_e32 v53, v24
	v_mul_f32_e32 v4, v31, v4
	v_fma_f32 v5, v11, v14, -v5
	v_fma_f32 v14, -v16, v40, 1.0
	v_mul_f32_e32 v11, v42, v19
	v_mov_b32_dpp v12, v8 quad_perm:[1,0,3,2] row_mask:0xf bank_mask:0xf
	v_div_scale_f32 v18, null, v17, v17, v21
	s_delay_alu instid0(VALU_DEP_4) | instskip(NEXT) | instid1(TRANS32_DEP_1)
	v_dual_fmac_f32 v40, v14, v40 :: v_dual_mul_f32 v5, v49, v5
	v_fma_f32 v14, -v24, v53, 1.0
	v_fma_f32 v49, -v38, v11, v42
	s_delay_alu instid0(VALU_DEP_4) | instskip(SKIP_1) | instid1(VALU_DEP_3)
	v_rcp_f32_e32 v54, v18
	v_div_scale_f32 v52, s3, v21, v17, v21
	v_fmac_f32_e32 v53, v14, v53
	v_div_scale_f32 v48, null, v17, v17, v34
	v_fmac_f32_e32 v11, v49, v19
	v_div_scale_f32 v51, s2, v34, v17, v34
	s_delay_alu instid0(VALU_DEP_3) | instskip(NEXT) | instid1(TRANS32_DEP_2)
	v_rcp_f32_e32 v31, v48
	v_fma_f32 v61, -v18, v54, 1.0
	s_delay_alu instid0(VALU_DEP_3) | instskip(SKIP_2) | instid1(VALU_DEP_3)
	v_fma_f32 v38, -v38, v11, v42
	v_div_scale_f32 v58, null, v3, v3, v5
	v_div_scale_f32 v60, s5, v5, v3, v5
	v_div_fmas_f32 v11, v38, v19, v11
	s_mov_b32 vcc_lo, s0
	s_delay_alu instid0(VALU_DEP_3) | instskip(NEXT) | instid1(TRANS32_DEP_2)
	v_rcp_f32_e32 v14, v58
	v_fma_f32 v57, -v48, v31, 1.0
	s_delay_alu instid0(VALU_DEP_2) | instskip(NEXT) | instid1(VALU_DEP_2)
	v_div_fixup_f32 v11, v11, v3, v47
	v_fmac_f32_e32 v31, v57, v31
	v_mul_f32_e32 v57, v44, v53
	v_mul_f32_e32 v49, v33, v40
	v_div_scale_f32 v55, s4, v4, v30, v4
	v_add_f32_e32 v11, v11, v41
	s_delay_alu instid0(VALU_DEP_4) | instskip(SKIP_3) | instid1(VALU_DEP_4)
	v_fma_f32 v38, -v24, v57, v44
	v_add_f32_e32 v8, v8, v12
	v_div_scale_f32 v12, null, v30, v30, v4
	v_fma_f32 v42, -v16, v49, v33
	v_dual_fmac_f32 v57, v38, v53 :: v_dual_fmac_f32 v54, v61, v54
	s_delay_alu instid0(VALU_DEP_3) | instskip(NEXT) | instid1(VALU_DEP_2)
	v_rcp_f32_e32 v56, v12
	v_dual_fmac_f32 v49, v42, v40 :: v_dual_mul_f32 v62, v51, v31
	s_delay_alu instid0(VALU_DEP_2) | instskip(NEXT) | instid1(VALU_DEP_3)
	v_mul_f32_e32 v19, v52, v54
	v_fma_f32 v24, -v24, v57, v44
	s_delay_alu instid0(VALU_DEP_3) | instskip(NEXT) | instid1(VALU_DEP_4)
	v_fma_f32 v16, -v16, v49, v33
	v_fma_f32 v42, -v48, v62, v51
	s_delay_alu instid0(VALU_DEP_4) | instskip(NEXT) | instid1(TRANS32_DEP_1)
	v_fma_f32 v33, -v18, v19, v52
	v_fma_f32 v61, -v12, v56, 1.0
	s_delay_alu instid0(VALU_DEP_4) | instskip(SKIP_1) | instid1(VALU_DEP_3)
	v_div_fmas_f32 v16, v16, v40, v49
	s_mov_b32 vcc_lo, s3
	v_fmac_f32_e32 v19, v33, v54
	s_delay_alu instid0(VALU_DEP_3) | instskip(SKIP_2) | instid1(VALU_DEP_4)
	v_fmac_f32_e32 v56, v61, v56
	v_fma_f32 v61, -v58, v14, 1.0
	v_div_fixup_f32 v16, v16, v3, v22
	v_fma_f32 v18, -v18, v19, v52
	s_delay_alu instid0(VALU_DEP_4) | instskip(NEXT) | instid1(VALU_DEP_3)
	v_mul_f32_e32 v38, v55, v56
	v_add_f32_e32 v16, v50, v16
	s_delay_alu instid0(VALU_DEP_3) | instskip(NEXT) | instid1(VALU_DEP_3)
	v_div_fmas_f32 v18, v18, v54, v19
	v_fma_f32 v33, -v12, v38, v55
	s_mov_b32 vcc_lo, s1
	v_div_fmas_f32 v19, v24, v53, v57
	s_delay_alu instid0(VALU_DEP_3) | instskip(NEXT) | instid1(VALU_DEP_3)
	v_div_fixup_f32 v18, v18, v17, v21
	v_fmac_f32_e32 v38, v33, v56
	v_mov_b32_dpp v33, v11 quad_perm:[2,3,0,1] row_mask:0xf bank_mask:0xf
	v_fmac_f32_e32 v62, v42, v31
	s_mov_b32 vcc_lo, s4
	v_div_fixup_f32 v19, v19, v3, v29
	v_fma_f32 v12, -v12, v38, v55
	v_sub_f32_e32 v11, v11, v33
	v_fma_f32 v41, -v48, v62, v51
	s_delay_alu instid0(VALU_DEP_3) | instskip(NEXT) | instid1(VALU_DEP_3)
	v_div_fmas_f32 v12, v12, v56, v38
	v_mul_f32_e32 v42, 0x40400000, v11
	v_fmac_f32_e32 v14, v61, v14
	s_mov_b32 vcc_lo, s2
	v_mul_f32_e32 v44, 4.0, v11
	v_div_fmas_f32 v29, v41, v31, v62
	v_add_f32_e32 v18, v43, v18
	v_mul_f32_e32 v40, v60, v14
	v_mul_f32_e32 v24, v11, v11
	s_mov_b32 vcc_lo, s5
	v_div_fixup_f32 v4, v12, v30, v4
	v_add_f32_e32 v18, v19, v18
	v_fma_f32 v22, -v58, v40, v60
	s_delay_alu instid0(VALU_DEP_3) | instskip(NEXT) | instid1(VALU_DEP_2)
	v_add_f32_e32 v4, v8, v4
	v_fmac_f32_e32 v40, v22, v14
	v_mov_b32_dpp v22, v16 quad_perm:[2,3,0,1] row_mask:0xf bank_mask:0xf
	s_delay_alu instid0(VALU_DEP_2) | instskip(NEXT) | instid1(VALU_DEP_2)
	v_fma_f32 v21, -v58, v40, v60
	v_mul_f32_e32 v41, v3, v22
	v_add_f32_e32 v31, v16, v22
	v_mul_f32_e32 v22, v17, v22
	v_div_fixup_f32 v17, v29, v17, v34
	s_delay_alu instid0(VALU_DEP_4) | instskip(NEXT) | instid1(VALU_DEP_3)
	v_fma_f32 v19, v16, v20, -v41
	v_fmac_f32_e32 v22, v39, v16
	v_mov_b32_dpp v16, v18 quad_perm:[2,3,0,1] row_mask:0xf bank_mask:0xf
	s_delay_alu instid0(VALU_DEP_3) | instskip(SKIP_2) | instid1(VALU_DEP_4)
	v_dual_add_f32 v4, v17, v4 :: v_dual_mul_f32 v19, v42, v19
	v_div_fmas_f32 v12, v21, v14, v40
	v_mul_f32_e32 v14, v11, v24
	v_add_f32_e32 v34, v18, v16
	s_delay_alu instid0(VALU_DEP_4) | instskip(NEXT) | instid1(VALU_DEP_3)
	v_div_scale_f32 v39, s1, v19, v7, v19
	v_mul_f32_e32 v8, v11, v14
	v_mul_f32_e32 v14, v14, v20
	v_div_fixup_f32 v5, v12, v3, v5
	s_delay_alu instid0(VALU_DEP_3) | instskip(NEXT) | instid1(VALU_DEP_3)
	v_mul_f32_e32 v8, v8, v20
	v_mul_f32_e32 v14, v3, v14
	s_delay_alu instid0(VALU_DEP_3) | instskip(NEXT) | instid1(VALU_DEP_3)
	v_add_f32_e32 v4, v5, v4
	v_mul_f32_e32 v8, v3, v8
	s_delay_alu instid0(VALU_DEP_3) | instskip(SKIP_1) | instid1(VALU_DEP_3)
	v_mul_f32_e32 v14, v32, v14
	v_div_scale_f32 v32, null, v7, v7, v19
	v_mul_f32_e32 v8, v36, v8
	s_delay_alu instid0(VALU_DEP_3) | instskip(NEXT) | instid1(VALU_DEP_3)
	v_div_scale_f32 v42, s3, v14, v23, v14
	v_rcp_f32_e32 v43, v32
	s_delay_alu instid0(VALU_DEP_2) | instskip(SKIP_1) | instid1(VALU_DEP_1)
	v_div_scale_f32 v48, s4, v8, v35, v8
	v_mul_f32_e32 v38, v3, v11
	v_div_scale_f32 v21, null, v7, v7, v38
	v_div_scale_f32 v30, vcc_lo, v38, v7, v38
	s_delay_alu instid0(VALU_DEP_2) | instskip(SKIP_2) | instid1(VALU_DEP_1)
	v_rcp_f32_e32 v11, v21
	s_waitcnt_depctr 0xfff
	v_fma_f32 v5, -v21, v11, 1.0
	v_fmac_f32_e32 v11, v5, v11
	v_div_scale_f32 v5, null, v23, v23, v14
	s_delay_alu instid0(VALU_DEP_1) | instskip(SKIP_2) | instid1(VALU_DEP_1)
	v_rcp_f32_e32 v47, v5
	s_waitcnt_depctr 0xfff
	v_fma_f32 v53, -v5, v47, 1.0
	v_dual_mul_f32 v40, v24, v20 :: v_dual_fmac_f32 v47, v53, v47
	s_delay_alu instid0(VALU_DEP_1) | instskip(SKIP_2) | instid1(VALU_DEP_3)
	v_mul_f32_e32 v12, v3, v40
	v_mul_f32_e32 v3, v3, v16
	v_mov_b32_dpp v16, v4 quad_perm:[2,3,0,1] row_mask:0xf bank_mask:0xf
	v_div_scale_f32 v17, null, v7, v7, v12
	s_delay_alu instid0(VALU_DEP_2) | instskip(SKIP_4) | instid1(VALU_DEP_4)
	v_add_f32_e32 v4, v4, v16
	v_div_scale_f32 v16, null, v35, v35, v8
	v_fma_f32 v3, v18, v20, -v3
	v_mul_f32_e32 v18, v30, v11
	v_div_scale_f32 v29, s0, v12, v7, v12
	v_rcp_f32_e32 v49, v16
	s_delay_alu instid0(VALU_DEP_3) | instskip(NEXT) | instid1(VALU_DEP_3)
	v_mul_f32_e32 v3, v44, v3
	v_fma_f32 v44, -v21, v18, v30
	s_delay_alu instid0(VALU_DEP_2) | instskip(NEXT) | instid1(VALU_DEP_2)
	v_div_scale_f32 v51, null, v7, v7, v3
	v_fmac_f32_e32 v18, v44, v11
	v_div_scale_f32 v52, s5, v3, v7, v3
	s_waitcnt_depctr 0xfff
	v_fma_f32 v53, -v16, v49, 1.0
	v_fma_f32 v21, -v21, v18, v30
	s_delay_alu instid0(VALU_DEP_2) | instskip(NEXT) | instid1(VALU_DEP_2)
	v_dual_fmac_f32 v49, v53, v49 :: v_dual_mul_f32 v24, 0x40c00000, v24
	v_div_fmas_f32 v11, v21, v11, v18
	v_mul_f32_e32 v18, v42, v47
	s_mov_b32 vcc_lo, s0
	s_delay_alu instid0(VALU_DEP_3) | instskip(SKIP_1) | instid1(VALU_DEP_1)
	v_mul_f32_e32 v22, v24, v22
	v_rcp_f32_e32 v24, v17
	v_div_scale_f32 v40, null, v23, v23, v22
	v_div_scale_f32 v41, s2, v22, v23, v22
	s_delay_alu instid0(VALU_DEP_2) | instskip(SKIP_2) | instid1(VALU_DEP_1)
	v_rcp_f32_e32 v36, v40
	s_waitcnt_depctr 0xfff
	v_fma_f32 v20, -v17, v24, 1.0
	v_fmac_f32_e32 v24, v20, v24
	v_fma_f32 v20, -v32, v43, 1.0
	v_fma_f32 v50, -v40, v36, 1.0
	s_delay_alu instid0(VALU_DEP_2) | instskip(SKIP_1) | instid1(VALU_DEP_2)
	v_dual_mul_f32 v44, v29, v24 :: v_dual_fmac_f32 v43, v20, v43
	v_rcp_f32_e32 v20, v51
	v_fmac_f32_e32 v36, v50, v36
	s_delay_alu instid0(VALU_DEP_2) | instskip(NEXT) | instid1(VALU_DEP_3)
	v_fma_f32 v30, -v17, v44, v29
	v_mul_f32_e32 v50, v39, v43
	s_delay_alu instid0(VALU_DEP_3) | instskip(NEXT) | instid1(VALU_DEP_3)
	v_mul_f32_e32 v54, v41, v36
	v_fmac_f32_e32 v44, v30, v24
	s_delay_alu instid0(VALU_DEP_3) | instskip(NEXT) | instid1(TRANS32_DEP_1)
	v_fma_f32 v21, -v32, v50, v39
	v_fma_f32 v53, -v51, v20, 1.0
	s_delay_alu instid0(VALU_DEP_4) | instskip(NEXT) | instid1(VALU_DEP_4)
	v_fma_f32 v30, -v40, v54, v41
	v_fma_f32 v17, -v17, v44, v29
	;; [unrolled: 1-line block ×3, first 2 shown]
	v_dual_fmac_f32 v50, v21, v43 :: v_dual_mul_f32 v21, v48, v49
	v_div_fixup_f32 v11, v11, v7, v38
	v_fmac_f32_e32 v20, v53, v20
	v_fmac_f32_e32 v54, v30, v36
	v_div_fmas_f32 v17, v17, v24, v44
	s_delay_alu instid0(VALU_DEP_4) | instskip(SKIP_2) | instid1(VALU_DEP_4)
	v_dual_fmac_f32 v18, v29, v47 :: v_dual_add_f32 v11, v11, v33
	v_fma_f32 v29, -v16, v21, v48
	v_mul_f32_e32 v30, v52, v20
	v_div_fixup_f32 v12, v17, v7, v12
	s_delay_alu instid0(VALU_DEP_4)
	v_fma_f32 v5, -v5, v18, v42
	v_fma_f32 v24, -v32, v50, v39
	v_fmac_f32_e32 v21, v29, v49
	v_fma_f32 v17, -v51, v30, v52
	v_mov_b32_dpp v29, v11 row_ror:4 row_mask:0xf bank_mask:0xf
	s_mov_b32 vcc_lo, s3
	v_fma_f32 v32, -v40, v54, v41
	v_div_fmas_f32 v5, v5, v47, v18
	v_fma_f32 v16, -v16, v21, v48
	v_dual_fmac_f32 v30, v17, v20 :: v_dual_sub_f32 v11, v11, v29
	s_mov_b32 vcc_lo, s1
	s_delay_alu instid0(VALU_DEP_3)
	v_div_fixup_f32 v5, v5, v23, v14
	v_div_fmas_f32 v17, v24, v43, v50
	s_mov_b32 vcc_lo, s4
	v_mul_f32_e32 v24, v7, v11
	v_div_fmas_f32 v14, v16, v49, v21
	v_fma_f32 v16, -v51, v30, v52
	v_mul_f32_e32 v21, v11, v11
	s_mov_b32 vcc_lo, s2
	v_div_fixup_f32 v17, v17, v7, v19
	v_div_fmas_f32 v19, v32, v36, v54
	s_mov_b32 vcc_lo, s5
	v_div_fixup_f32 v8, v14, v35, v8
	v_div_fmas_f32 v14, v16, v20, v30
	v_mul_f32_e32 v16, v11, v21
	v_div_scale_f32 v20, null, v6, v6, v24
	v_dual_add_f32 v12, v31, v12 :: v_dual_mul_f32 v31, 0x40400000, v11
	v_mul_f32_e32 v33, 4.0, v11
	v_div_fixup_f32 v19, v19, v23, v22
	v_add_f32_e32 v4, v4, v8
	v_mul_f32_e32 v8, v11, v16
	v_rcp_f32_e32 v11, v20
	v_div_fixup_f32 v3, v14, v7, v3
	v_mov_b32_dpp v18, v12 row_ror:4 row_mask:0xf bank_mask:0xf
	v_add_f32_e32 v4, v19, v4
	v_mul_f32_e32 v16, v16, v26
	v_mul_f32_e32 v8, v8, v26
	v_div_scale_f32 v30, vcc_lo, v24, v6, v24
	s_delay_alu instid0(VALU_DEP_4) | instskip(SKIP_1) | instid1(TRANS32_DEP_1)
	v_add_f32_e32 v3, v3, v4
	v_mul_f32_e32 v35, v7, v18
	v_fma_f32 v4, -v20, v11, 1.0
	v_add_f32_e32 v32, v12, v18
	v_mul_f32_e32 v18, v23, v18
	v_mul_f32_e32 v16, v7, v16
	s_delay_alu instid0(VALU_DEP_4) | instskip(SKIP_1) | instid1(VALU_DEP_4)
	v_dual_mul_f32 v8, v7, v8 :: v_dual_fmac_f32 v11, v4, v11
	v_dual_add_f32 v5, v34, v5 :: v_dual_mul_f32 v34, v21, v26
	v_dual_mul_f32 v21, 0x40c00000, v21 :: v_dual_fmac_f32 v18, v59, v12
	s_delay_alu instid0(VALU_DEP_4) | instskip(NEXT) | instid1(VALU_DEP_3)
	v_mul_f32_e32 v16, v37, v16
	v_dual_add_f32 v5, v17, v5 :: v_dual_mul_f32 v14, v7, v34
	v_fma_f32 v17, v12, v26, -v35
	s_delay_alu instid0(VALU_DEP_4) | instskip(NEXT) | instid1(VALU_DEP_4)
	v_mul_f32_e32 v18, v21, v18
	v_div_scale_f32 v4, null, v28, v28, v16
	s_delay_alu instid0(VALU_DEP_4) | instskip(NEXT) | instid1(VALU_DEP_4)
	v_div_scale_f32 v19, null, v6, v6, v14
	v_mul_f32_e32 v17, v31, v17
	v_mov_b32_dpp v12, v5 row_ror:4 row_mask:0xf bank_mask:0xf
	v_div_scale_f32 v35, null, v28, v28, v18
	s_delay_alu instid0(VALU_DEP_4) | instskip(NEXT) | instid1(VALU_DEP_3)
	v_rcp_f32_e32 v21, v19
	v_div_scale_f32 v31, null, v6, v6, v17
	s_delay_alu instid0(VALU_DEP_3) | instskip(SKIP_2) | instid1(VALU_DEP_4)
	v_add_f32_e32 v23, v5, v12
	v_mul_f32_e32 v7, v7, v12
	v_mov_b32_dpp v12, v3 row_ror:4 row_mask:0xf bank_mask:0xf
	v_rcp_f32_e32 v38, v31
	v_mul_f32_e32 v8, v64, v8
	v_rcp_f32_e32 v39, v35
	v_fma_f32 v5, v5, v26, -v7
	v_mul_f32_e32 v7, v30, v11
	v_fma_f32 v26, -v19, v21, 1.0
	v_rcp_f32_e32 v40, v4
	v_add_f32_e32 v3, v3, v12
	v_div_scale_f32 v12, null, v45, v45, v8
	v_div_scale_f32 v22, s0, v14, v6, v14
	v_mul_f32_e32 v5, v33, v5
	v_fma_f32 v33, -v20, v7, v30
	v_fmac_f32_e32 v21, v26, v21
	v_fma_f32 v26, -v31, v38, 1.0
	v_rcp_f32_e32 v42, v12
	v_div_scale_f32 v34, s1, v17, v6, v17
	v_fma_f32 v43, -v35, v39, 1.0
	v_fmac_f32_e32 v7, v33, v11
	v_mul_f32_e32 v33, v22, v21
	v_fma_f32 v48, -v4, v40, 1.0
	v_fmac_f32_e32 v38, v26, v38
	v_div_scale_f32 v37, s3, v16, v28, v16
	v_div_scale_f32 v44, null, v6, v6, v5
	v_fmac_f32_e32 v39, v43, v39
	v_fma_f32 v20, -v20, v7, v30
	v_fma_f32 v30, -v19, v33, v22
	v_dual_fmac_f32 v40, v48, v40 :: v_dual_mul_f32 v43, v34, v38
	v_fma_f32 v48, -v12, v42, 1.0
	v_div_scale_f32 v41, s4, v8, v45, v8
	v_rcp_f32_e32 v26, v44
	v_div_fmas_f32 v7, v20, v11, v7
	v_fmac_f32_e32 v33, v30, v21
	v_mul_f32_e32 v11, v37, v40
	v_fma_f32 v20, -v31, v43, v34
	v_fmac_f32_e32 v42, v48, v42
	v_div_scale_f32 v36, s2, v18, v28, v18
	v_fma_f32 v19, -v19, v33, v22
	v_fma_f32 v22, -v4, v11, v37
	v_fmac_f32_e32 v43, v20, v38
	v_mul_f32_e32 v20, v41, v42
	v_fma_f32 v48, -v44, v26, 1.0
	v_div_scale_f32 v47, s5, v5, v6, v5
	v_fmac_f32_e32 v11, v22, v40
	s_delay_alu instid0(VALU_DEP_4)
	v_fma_f32 v22, -v12, v20, v41
	v_div_fixup_f32 v7, v7, v6, v24
	v_fmac_f32_e32 v26, v48, v26
	s_mov_b32 vcc_lo, s0
	v_fma_f32 v4, -v4, v11, v37
	v_dual_fmac_f32 v20, v22, v42 :: v_dual_mul_f32 v49, v36, v39
	v_div_fmas_f32 v19, v19, v21, v33
	v_fma_f32 v21, -v31, v43, v34
	s_mov_b32 vcc_lo, s3
	v_add_f32_e32 v7, v7, v29
	v_mul_f32_e32 v24, v47, v26
	v_div_fmas_f32 v4, v4, v40, v11
	v_fma_f32 v11, -v12, v20, v41
	s_mov_b32 vcc_lo, s1
	v_fma_f32 v30, -v35, v49, v36
	v_div_fmas_f32 v12, v21, v38, v43
	s_mov_b32 vcc_lo, s4
	v_div_fixup_f32 v14, v19, v6, v14
	v_fma_f32 v19, -v44, v24, v47
	v_mov_b32_dpp v22, v7 row_ror:8 row_mask:0xf bank_mask:0xf
	v_div_fmas_f32 v11, v11, v42, v20
	v_fmac_f32_e32 v49, v30, v39
	v_div_fixup_f32 v4, v4, v28, v16
	v_fmac_f32_e32 v24, v19, v26
	v_sub_f32_e32 v7, v7, v22
	v_div_fixup_f32 v8, v11, v45, v8
	v_fma_f32 v29, -v35, v49, v36
	s_mov_b32 vcc_lo, s2
	v_fma_f32 v16, -v44, v24, v47
	v_mul_f32_e32 v20, v7, v7
	v_mul_f32_e32 v21, v6, v7
	v_dual_add_f32 v3, v3, v8 :: v_dual_add_f32 v14, v32, v14
	v_div_fixup_f32 v12, v12, v6, v17
	v_div_fmas_f32 v17, v29, v39, v49
	s_mov_b32 vcc_lo, s5
	v_add_f32_e32 v4, v23, v4
	v_mov_b32_dpp v19, v14 row_ror:8 row_mask:0xf bank_mask:0xf
	v_div_fmas_f32 v11, v16, v26, v24
	v_div_scale_f32 v23, null, v1, v1, v21
	v_dual_mul_f32 v29, v20, v25 :: v_dual_mul_f32 v16, v7, v20
	s_delay_alu instid0(VALU_DEP_4)
	v_add_f32_e32 v26, v14, v19
	v_mul_f32_e32 v31, v6, v19
	v_mul_f32_e32 v19, v28, v19
	v_div_fixup_f32 v17, v17, v28, v18
	v_add_f32_e32 v4, v12, v4
	v_div_fixup_f32 v5, v11, v6, v5
	v_rcp_f32_e32 v11, v23
	v_mul_f32_e32 v12, v6, v29
	v_mul_f32_e32 v20, 0x40c00000, v20
	;; [unrolled: 1-line block ×3, first 2 shown]
	v_dual_mul_f32 v16, v16, v25 :: v_dual_fmac_f32 v19, v69, v14
	v_add_f32_e32 v3, v17, v3
	v_div_scale_f32 v17, null, v1, v1, v12
	s_delay_alu instid0(VALU_DEP_3) | instskip(NEXT) | instid1(VALU_DEP_3)
	v_dual_mul_f32 v16, v6, v16 :: v_dual_mul_f32 v19, v20, v19
	v_add_f32_e32 v3, v5, v3
	s_delay_alu instid0(TRANS32_DEP_1) | instskip(NEXT) | instid1(VALU_DEP_4)
	v_fma_f32 v5, -v23, v11, 1.0
	v_rcp_f32_e32 v20, v17
	v_div_scale_f32 v24, vcc_lo, v21, v1, v21
	s_delay_alu instid0(VALU_DEP_2) | instskip(SKIP_2) | instid1(VALU_DEP_3)
	v_dual_mul_f32 v16, v46, v16 :: v_dual_fmac_f32 v11, v5, v11
	v_fma_f32 v18, v14, v25, -v31
	v_div_scale_f32 v28, s0, v12, v1, v12
	v_div_scale_f32 v32, null, v10, v10, v16
	s_delay_alu instid0(VALU_DEP_4) | instskip(NEXT) | instid1(TRANS32_DEP_1)
	v_mul_f32_e32 v31, v24, v11
	v_fma_f32 v33, -v17, v20, 1.0
	v_mul_f32_e32 v8, v8, v25
	s_delay_alu instid0(VALU_DEP_4) | instskip(SKIP_4) | instid1(VALU_DEP_3)
	v_rcp_f32_e32 v36, v32
	v_mov_b32_dpp v14, v4 row_ror:8 row_mask:0xf bank_mask:0xf
	v_fma_f32 v35, -v23, v31, v24
	v_fmac_f32_e32 v20, v33, v20
	v_mul_f32_e32 v8, v6, v8
	v_dual_mul_f32 v6, v6, v14 :: v_dual_fmac_f32 v31, v35, v11
	s_delay_alu instid0(VALU_DEP_3) | instskip(NEXT) | instid1(VALU_DEP_3)
	v_mul_f32_e32 v37, v28, v20
	v_mul_f32_e32 v8, v74, v8
	v_mov_b32_dpp v35, v3 row_ror:8 row_mask:0xf bank_mask:0xf
	s_delay_alu instid0(VALU_DEP_4) | instskip(SKIP_4) | instid1(VALU_DEP_4)
	v_fma_f32 v6, v4, v25, -v6
	v_fma_f32 v23, -v23, v31, v24
	v_fma_f32 v24, -v32, v36, 1.0
	v_fma_f32 v40, -v17, v37, v28
	v_div_scale_f32 v33, null, v27, v27, v8
	v_div_fmas_f32 v11, v23, v11, v31
	v_div_scale_f32 v23, s2, v16, v10, v16
	s_delay_alu instid0(VALU_DEP_4)
	v_fmac_f32_e32 v37, v40, v20
	v_fmac_f32_e32 v36, v24, v36
	s_mov_b32 vcc_lo, s0
	v_div_fixup_f32 v11, v11, v1, v21
	v_rcp_f32_e32 v39, v33
	v_fma_f32 v17, -v17, v37, v28
	v_mul_f32_e32 v24, v23, v36
	v_div_scale_f32 v25, s0, v8, v27, v8
	v_add_f32_e32 v11, v11, v22
	s_delay_alu instid0(VALU_DEP_4) | instskip(NEXT) | instid1(VALU_DEP_4)
	v_div_fmas_f32 v17, v17, v20, v37
	v_fma_f32 v20, -v32, v24, v23
	s_mov_b32 vcc_lo, s2
	v_add_f32_e32 v4, v4, v14
	s_delay_alu instid0(TRANS32_DEP_1) | instskip(SKIP_2) | instid1(VALU_DEP_3)
	v_fma_f32 v21, -v33, v39, 1.0
	v_div_scale_f32 v31, s3, v19, v10, v19
	v_dual_fmac_f32 v24, v20, v36 :: v_dual_add_f32 v3, v3, v35
	v_fmac_f32_e32 v39, v21, v39
	v_div_fixup_f32 v12, v17, v1, v12
	s_delay_alu instid0(VALU_DEP_3) | instskip(NEXT) | instid1(VALU_DEP_3)
	v_fma_f32 v23, -v32, v24, v23
	v_mul_f32_e32 v14, v25, v39
	s_delay_alu instid0(VALU_DEP_2) | instskip(SKIP_2) | instid1(VALU_DEP_1)
	v_div_fmas_f32 v23, v23, v36, v24
	ds_swizzle_b32 v24, v11 offset:swizzle(BROADCAST,32,15)
	v_div_fixup_f32 v16, v23, v10, v16
	v_add_f32_e32 v4, v4, v16
	s_waitcnt lgkmcnt(0)
	v_dual_sub_f32 v11, v11, v24 :: v_dual_mul_f32 v30, 0x40400000, v7
	s_delay_alu instid0(VALU_DEP_1) | instskip(SKIP_1) | instid1(VALU_DEP_2)
	v_dual_mul_f32 v7, 4.0, v7 :: v_dual_mul_f32 v18, v30, v18
	v_div_scale_f32 v30, null, v10, v10, v19
	v_mul_f32_e32 v6, v7, v6
	s_delay_alu instid0(VALU_DEP_3) | instskip(NEXT) | instid1(VALU_DEP_3)
	v_div_scale_f32 v29, null, v1, v1, v18
	v_rcp_f32_e32 v21, v30
	v_div_scale_f32 v5, s1, v18, v1, v18
	s_delay_alu instid0(VALU_DEP_2)
	v_rcp_f32_e32 v34, v29
	v_div_scale_f32 v28, null, v1, v1, v6
	s_mov_b32 vcc_lo, s1
	s_waitcnt_depctr 0xfff
	v_fma_f32 v20, -v30, v21, 1.0
	v_fma_f32 v38, -v29, v34, 1.0
	s_delay_alu instid0(VALU_DEP_2) | instskip(SKIP_1) | instid1(VALU_DEP_2)
	v_fmac_f32_e32 v21, v20, v21
	v_rcp_f32_e32 v20, v28
	v_fmac_f32_e32 v34, v38, v34
	s_delay_alu instid0(VALU_DEP_1) | instskip(SKIP_3) | instid1(VALU_DEP_2)
	v_mul_f32_e32 v22, v5, v34
	s_waitcnt_depctr 0xfff
	v_fma_f32 v32, -v28, v20, 1.0
	v_fma_f32 v7, -v29, v22, v5
	v_fmac_f32_e32 v20, v32, v20
	v_div_scale_f32 v32, s1, v6, v1, v6
	s_delay_alu instid0(VALU_DEP_3) | instskip(SKIP_1) | instid1(VALU_DEP_2)
	v_fmac_f32_e32 v22, v7, v34
	v_fma_f32 v7, -v33, v14, v25
	v_fma_f32 v5, -v29, v22, v5
	s_delay_alu instid0(VALU_DEP_2)
	v_fmac_f32_e32 v14, v7, v39
	ds_swizzle_b32 v29, v1 offset:swizzle(BROADCAST,32,15)
	v_mul_f32_e32 v7, v31, v21
	v_div_fmas_f32 v5, v5, v34, v22
	v_fma_f32 v22, -v33, v14, v25
	s_mov_b32 vcc_lo, s0
	s_delay_alu instid0(VALU_DEP_3) | instskip(NEXT) | instid1(VALU_DEP_3)
	v_fma_f32 v25, -v30, v7, v31
	v_div_fixup_f32 v5, v5, v1, v18
	s_delay_alu instid0(VALU_DEP_3) | instskip(NEXT) | instid1(VALU_DEP_3)
	v_div_fmas_f32 v14, v22, v39, v14
	v_dual_mul_f32 v22, v32, v20 :: v_dual_fmac_f32 v7, v25, v21
	s_mov_b32 vcc_lo, s3
	s_delay_alu instid0(VALU_DEP_3) | instskip(NEXT) | instid1(VALU_DEP_3)
	v_add_f32_e32 v4, v5, v4
	v_div_fixup_f32 v8, v14, v27, v8
	s_delay_alu instid0(VALU_DEP_3)
	v_fma_f32 v25, -v28, v22, v32
	v_fma_f32 v14, -v30, v7, v31
	v_mul_f32_e32 v30, v1, v11
	ds_swizzle_b32 v5, v9 offset:swizzle(BROADCAST,32,15)
	v_add_f32_e32 v3, v3, v8
	s_waitcnt lgkmcnt(1)
	v_add_f32_e32 v27, v1, v29
	v_fmac_f32_e32 v22, v25, v20
	v_div_fmas_f32 v7, v14, v21, v7
	s_mov_b32 vcc_lo, s1
	v_sub_f32_e32 v31, v29, v1
	v_div_scale_f32 v14, null, v27, v27, v30
	v_fma_f32 v8, -v28, v22, v32
	v_div_fixup_f32 v7, v7, v10, v19
	ds_swizzle_b32 v17, v4 offset:swizzle(BROADCAST,32,15)
	v_rcp_f32_e32 v19, v14
	v_div_fmas_f32 v8, v8, v20, v22
	v_cmp_gt_f32_e32 vcc_lo, v2, v13
	v_add_f32_e32 v3, v7, v3
	v_dual_add_f32 v7, v26, v12 :: v_dual_mul_f32 v22, v27, v27
	s_delay_alu instid0(VALU_DEP_4) | instskip(SKIP_3) | instid1(TRANS32_DEP_1)
	v_div_fixup_f32 v6, v8, v1, v6
	v_cndmask_b32_e32 v2, v13, v2, vcc_lo
	s_waitcnt lgkmcnt(1)
	v_cmp_lt_f32_e64 s0, v9, v5
	v_fma_f32 v8, -v14, v19, 1.0
	ds_swizzle_b32 v16, v7 offset:swizzle(BROADCAST,32,15)
	v_add_f32_e32 v3, v6, v3
	v_mul_f32_e32 v6, v11, v11
	ds_swizzle_b32 v12, v2 offset:swizzle(BROADCAST,32,15)
	v_fmac_f32_e32 v19, v8, v19
	v_div_scale_f32 v8, vcc_lo, v30, v27, v30
	v_mul_f32_e32 v13, v6, v29
	v_mul_f32_e32 v21, v11, v6
	v_cndmask_b32_e64 v5, v5, v9, s0
	s_delay_alu instid0(VALU_DEP_4) | instskip(NEXT) | instid1(VALU_DEP_4)
	v_mul_f32_e32 v18, v8, v19
	v_dual_mul_f32 v28, v27, v22 :: v_dual_mul_f32 v13, v1, v13
	s_delay_alu instid0(VALU_DEP_4) | instskip(SKIP_1) | instid1(VALU_DEP_4)
	v_mul_f32_e32 v26, v21, v29
	v_mul_f32_e32 v21, v11, v21
	v_fma_f32 v23, -v14, v18, v8
	v_mul_f32_e32 v6, 0x40c00000, v6
	v_div_scale_f32 v25, null, v27, v27, v13
	v_mul_f32_e32 v26, v1, v26
	s_delay_alu instid0(VALU_DEP_4)
	v_fmac_f32_e32 v18, v23, v19
	s_waitcnt lgkmcnt(1)
	v_mul_f32_e32 v10, v10, v16
	v_rcp_f32_e32 v23, v25
	s_waitcnt lgkmcnt(0)
	v_cmp_gt_f32_e64 s0, v2, v12
	ds_swizzle_b32 v20, v3 offset:swizzle(BROADCAST,32,15)
	v_fma_f32 v8, -v14, v18, v8
	v_cndmask_b32_e64 v9, v12, v2, s0
	v_mul_f32_e32 v2, v31, v26
	v_mul_f32_e32 v12, v1, v16
	s_delay_alu instid0(VALU_DEP_4)
	v_div_fmas_f32 v8, v8, v19, v18
	v_fma_f32 v14, -v25, v23, 1.0
	v_mul_f32_e32 v18, v29, v29
	v_div_scale_f32 v26, null, v22, v22, v2
	v_mul_f32_e32 v31, 0x40400000, v11
	v_fma_f32 v12, v7, v29, -v12
	v_fmac_f32_e32 v23, v14, v23
	s_delay_alu instid0(VALU_DEP_4) | instskip(SKIP_4) | instid1(VALU_DEP_4)
	v_rcp_f32_e32 v14, v26
	v_mul_f32_e32 v19, v21, v29
	v_fma_f32 v21, -v1, v29, v18
	v_mul_f32_e32 v12, v31, v12
	v_div_scale_f32 v31, vcc_lo, v13, v27, v13
	v_mul_f32_e32 v19, v1, v19
	s_delay_alu instid0(VALU_DEP_4) | instskip(SKIP_1) | instid1(VALU_DEP_4)
	v_fmac_f32_e32 v21, v1, v1
	v_div_fixup_f32 v8, v8, v27, v30
	v_mul_f32_e32 v33, v31, v23
	s_delay_alu instid0(TRANS32_DEP_1)
	v_fma_f32 v30, -v26, v14, 1.0
	v_fmac_f32_e32 v10, v18, v7
	v_mul_f32_e32 v19, v21, v19
	v_div_scale_f32 v32, null, v27, v27, v12
	v_fma_f32 v21, -v25, v33, v31
	v_fmac_f32_e32 v14, v30, v14
	s_delay_alu instid0(VALU_DEP_4) | instskip(SKIP_3) | instid1(VALU_DEP_3)
	v_div_scale_f32 v30, null, v28, v28, v19
	v_mul_f32_e32 v6, v6, v10
	v_rcp_f32_e32 v34, v32
	v_fmac_f32_e32 v33, v21, v23
	v_rcp_f32_e32 v36, v30
	v_mul_f32_e32 v1, v1, v17
	v_div_scale_f32 v21, null, v22, v22, v6
	v_mul_f32_e32 v11, 4.0, v11
	v_div_scale_f32 v18, s0, v2, v22, v2
	s_delay_alu instid0(VALU_DEP_3) | instskip(SKIP_1) | instid1(TRANS32_DEP_3)
	v_rcp_f32_e32 v38, v21
	v_fma_f32 v1, v4, v29, -v1
	v_fma_f32 v35, -v32, v34, 1.0
	s_delay_alu instid0(TRANS32_DEP_2)
	v_fma_f32 v37, -v30, v36, 1.0
	v_mul_f32_e32 v10, v18, v14
	v_fma_f32 v25, -v25, v33, v31
	v_mul_f32_e32 v1, v11, v1
	v_fmac_f32_e32 v34, v35, v34
	v_div_scale_f32 v35, s1, v12, v27, v12
	v_fmac_f32_e32 v36, v37, v36
	v_fma_f32 v37, -v21, v38, 1.0
	v_div_scale_f32 v39, null, v27, v27, v1
	v_fma_f32 v29, -v26, v10, v18
	v_mul_f32_e32 v31, v35, v34
	v_div_scale_f32 v11, s2, v19, v28, v19
	v_fmac_f32_e32 v38, v37, v38
	v_rcp_f32_e32 v37, v39
	v_fmac_f32_e32 v10, v29, v14
	v_fma_f32 v29, -v32, v31, v35
	v_mul_f32_e32 v40, v11, v36
	v_div_scale_f32 v41, s3, v6, v22, v6
	v_div_fmas_f32 v23, v25, v23, v33
	s_delay_alu instid0(VALU_DEP_4) | instskip(NEXT) | instid1(VALU_DEP_4)
	v_fmac_f32_e32 v31, v29, v34
	v_fma_f32 v25, -v30, v40, v11
	v_fma_f32 v18, -v26, v10, v18
	s_delay_alu instid0(TRANS32_DEP_1)
	v_fma_f32 v29, -v39, v37, 1.0
	v_mul_f32_e32 v26, v41, v38
	s_mov_b32 vcc_lo, s0
	v_fmac_f32_e32 v40, v25, v36
	v_div_scale_f32 v25, s0, v1, v27, v1
	v_fmac_f32_e32 v37, v29, v37
	v_div_fmas_f32 v10, v18, v14, v10
	v_fma_f32 v18, -v21, v26, v41
	v_fma_f32 v14, -v32, v31, v35
	;; [unrolled: 1-line block ×3, first 2 shown]
	v_mul_f32_e32 v29, v25, v37
	s_mov_b32 vcc_lo, s1
	v_fmac_f32_e32 v26, v18, v38
	v_div_fmas_f32 v14, v14, v34, v31
	s_mov_b32 vcc_lo, s2
	v_fma_f32 v18, -v39, v29, v25
	v_div_fmas_f32 v11, v11, v36, v40
	v_add_f32_e32 v7, v7, v16
	v_fma_f32 v16, -v21, v26, v41
	s_mov_b32 vcc_lo, s3
	v_fmac_f32_e32 v29, v18, v37
	s_waitcnt lgkmcnt(0)
	v_add_f32_e32 v3, v3, v20
	v_div_fixup_f32 v11, v11, v28, v19
	v_div_fmas_f32 v16, v16, v38, v26
	v_div_fixup_f32 v2, v10, v22, v2
	v_fma_f32 v10, -v39, v29, v25
	s_mov_b32 vcc_lo, s0
	v_dual_add_f32 v3, v3, v11 :: v_dual_add_f32 v4, v4, v17
	v_div_fixup_f32 v6, v16, v22, v6
	s_delay_alu instid0(VALU_DEP_3)
	v_div_fmas_f32 v10, v10, v37, v29
	v_div_fixup_f32 v11, v23, v27, v13
	v_add_f32_e32 v8, v8, v24
	v_add_f32_e32 v2, v4, v2
	v_div_fixup_f32 v4, v14, v27, v12
	v_add_f32_e32 v3, v6, v3
	v_div_fixup_f32 v1, v10, v27, v1
	v_dual_mov_b32 v6, 0 :: v_dual_add_f32 v7, v7, v11
	s_delay_alu instid0(VALU_DEP_4) | instskip(SKIP_1) | instid1(VALU_DEP_3)
	v_add_f32_e32 v10, v4, v2
	s_mov_b32 s0, exec_lo
	v_add_f32_e32 v11, v1, v3
	ds_bpermute_b32 v1, v6, v27 offset:124
	ds_bpermute_b32 v2, v6, v5 offset:124
	;; [unrolled: 1-line block ×7, first 2 shown]
	v_cmpx_eq_u32_e32 0, v15
	s_cbranch_execz .LBB7_3
; %bb.2:
	v_lshrrev_b32_e32 v5, 5, v0
	s_delay_alu instid0(VALU_DEP_1)
	v_mul_u32_u24_e32 v5, 28, v5
	s_waitcnt lgkmcnt(5)
	ds_store_2addr_b32 v5, v1, v2 offset0:56 offset1:57
	s_waitcnt lgkmcnt(4)
	ds_store_2addr_b32 v5, v3, v4 offset0:58 offset1:59
	;; [unrolled: 2-line block ×3, first 2 shown]
	s_waitcnt lgkmcnt(3)
	ds_store_b32 v5, v11 offset:248
.LBB7_3:
	s_or_b32 exec_lo, exec_lo, s0
	s_delay_alu instid0(SALU_CYCLE_1)
	s_mov_b32 s4, exec_lo
	s_waitcnt lgkmcnt(0)
	s_barrier
	buffer_gl0_inv
	v_cmpx_gt_u32_e32 32, v0
	s_cbranch_execz .LBB7_5
; %bb.4:
	v_and_b32_e32 v1, 7, v15
	s_delay_alu instid0(VALU_DEP_1)
	v_mul_u32_u24_e32 v8, 28, v1
	ds_load_2addr_b32 v[2:3], v8 offset0:56 offset1:57
	ds_load_2addr_b32 v[4:5], v8 offset0:58 offset1:59
	;; [unrolled: 1-line block ×3, first 2 shown]
	ds_load_b32 v8, v8 offset:248
	s_waitcnt lgkmcnt(3)
	v_mul_f32_e32 v18, v2, v2
	v_cmp_ne_u32_e32 vcc_lo, 7, v1
	v_add_co_ci_u32_e32 v9, vcc_lo, 0, v15, vcc_lo
	v_cmp_gt_u32_e32 vcc_lo, 6, v1
	s_delay_alu instid0(VALU_DEP_2)
	v_lshlrev_b32_e32 v9, 2, v9
	v_cndmask_b32_e64 v17, 0, 1, vcc_lo
	ds_bpermute_b32 v12, v9, v3
	s_waitcnt lgkmcnt(2)
	ds_bpermute_b32 v14, v9, v6
	s_waitcnt lgkmcnt(1)
	v_cmp_gt_f32_e32 vcc_lo, v3, v12
	s_waitcnt lgkmcnt(0)
	v_dual_cndmask_b32 v3, v3, v12 :: v_dual_add_f32 v12, v6, v14
	ds_bpermute_b32 v11, v9, v5
	ds_bpermute_b32 v13, v9, v4
	;; [unrolled: 1-line block ×5, first 2 shown]
	s_waitcnt lgkmcnt(4)
	v_sub_f32_e32 v11, v11, v5
	s_waitcnt lgkmcnt(3)
	v_cmp_lt_f32_e32 vcc_lo, v4, v13
	s_waitcnt lgkmcnt(2)
	v_sub_f32_e32 v20, v2, v10
	v_add_f32_e32 v19, v2, v10
	v_fma_f32 v22, -v2, v10, v18
	v_dual_mul_f32 v23, v10, v10 :: v_dual_cndmask_b32 v4, v4, v13
	s_waitcnt lgkmcnt(1)
	v_add_f32_e32 v13, v7, v16
	v_dual_mul_f32 v21, v6, v10 :: v_dual_mul_f32 v24, v19, v19
	v_mul_f32_e32 v18, v18, v14
	v_mul_f32_e32 v7, v7, v10
	;; [unrolled: 1-line block ×3, first 2 shown]
	v_dual_mul_f32 v26, v11, v10 :: v_dual_mul_f32 v27, 0x40400000, v11
	v_fma_f32 v14, v2, v14, -v21
	v_fmac_f32_e32 v18, v6, v23
	v_mul_f32_e32 v6, 4.0, v11
	v_fma_f32 v7, v2, v16, -v7
	v_mul_f32_e32 v21, v11, v25
	v_div_scale_f32 v23, null, v19, v19, v26
	v_fmac_f32_e32 v22, v10, v10
	s_delay_alu instid0(VALU_DEP_3) | instskip(NEXT) | instid1(VALU_DEP_3)
	v_dual_mul_f32 v6, v6, v7 :: v_dual_mul_f32 v7, v11, v21
	v_rcp_f32_e32 v11, v23
	v_div_scale_f32 v28, vcc_lo, v26, v19, v26
	s_waitcnt_depctr 0xfff
	v_fma_f32 v33, -v23, v11, 1.0
	s_delay_alu instid0(VALU_DEP_1) | instskip(NEXT) | instid1(VALU_DEP_1)
	v_fmac_f32_e32 v11, v33, v11
	v_dual_mul_f32 v21, v2, v21 :: v_dual_mul_f32 v36, v28, v11
	s_delay_alu instid0(VALU_DEP_1) | instskip(NEXT) | instid1(VALU_DEP_1)
	v_fma_f32 v39, -v23, v36, v28
	v_dual_mul_f32 v21, v21, v10 :: v_dual_fmac_f32 v36, v39, v11
	s_delay_alu instid0(VALU_DEP_1) | instskip(SKIP_2) | instid1(VALU_DEP_3)
	v_mul_f32_e32 v20, v20, v21
	v_dual_mul_f32 v16, v19, v24 :: v_dual_mul_f32 v29, v2, v25
	v_dual_mul_f32 v14, v27, v14 :: v_dual_mul_f32 v25, 0x40c00000, v25
	v_div_scale_f32 v21, null, v24, v24, v20
	v_fma_f32 v23, -v23, v36, v28
	s_delay_alu instid0(VALU_DEP_3) | instskip(NEXT) | instid1(VALU_DEP_3)
	v_div_scale_f32 v30, s0, v14, v19, v14
	v_rcp_f32_e32 v37, v21
	v_mul_f32_e32 v18, v25, v18
	v_dual_mul_f32 v27, v29, v10 :: v_dual_mul_f32 v2, v2, v7
	v_div_scale_f32 v29, null, v19, v19, v14
	v_div_scale_f32 v25, null, v19, v19, v6
	s_delay_alu instid0(VALU_DEP_3) | instskip(NEXT) | instid1(VALU_DEP_3)
	v_div_scale_f32 v31, null, v19, v19, v27
	v_rcp_f32_e32 v32, v29
	s_delay_alu instid0(TRANS32_DEP_2) | instskip(SKIP_1) | instid1(VALU_DEP_3)
	v_fma_f32 v41, -v21, v37, 1.0
	v_mul_f32_e32 v2, v2, v10
	v_rcp_f32_e32 v34, v31
	v_div_scale_f32 v35, s1, v27, v19, v27
	s_delay_alu instid0(VALU_DEP_2) | instskip(SKIP_2) | instid1(TRANS32_DEP_2)
	v_dual_fmac_f32 v37, v41, v37 :: v_dual_mul_f32 v2, v22, v2
	v_div_fmas_f32 v11, v23, v11, v36
	s_mov_b32 vcc_lo, s1
	v_fma_f32 v33, -v29, v32, 1.0
	v_div_scale_f32 v7, null, v24, v24, v18
	v_div_scale_f32 v38, null, v16, v16, v2
	v_div_scale_f32 v39, s3, v2, v16, v2
	s_delay_alu instid0(VALU_DEP_4) | instskip(NEXT) | instid1(VALU_DEP_3)
	v_fmac_f32_e32 v32, v33, v32
	v_rcp_f32_e32 v33, v38
	v_fma_f32 v22, -v31, v34, 1.0
	v_div_fixup_f32 v11, v11, v19, v26
	v_rcp_f32_e32 v10, v7
	s_delay_alu instid0(VALU_DEP_1)
	v_add_f32_e32 v5, v5, v11
	s_waitcnt_depctr 0xfff
	v_fma_f32 v28, -v38, v33, 1.0
	v_fmac_f32_e32 v34, v22, v34
	v_div_scale_f32 v22, s2, v20, v24, v20
	v_fma_f32 v41, -v7, v10, 1.0
	s_delay_alu instid0(VALU_DEP_3) | instskip(NEXT) | instid1(VALU_DEP_2)
	v_dual_fmac_f32 v33, v28, v33 :: v_dual_mul_f32 v40, v35, v34
	v_dual_fmac_f32 v10, v41, v10 :: v_dual_lshlrev_b32 v17, 1, v17
	s_delay_alu instid0(VALU_DEP_2) | instskip(NEXT) | instid1(VALU_DEP_2)
	v_fma_f32 v42, -v31, v40, v35
	v_add_lshl_u32 v17, v17, v15, 2
	s_delay_alu instid0(VALU_DEP_2) | instskip(SKIP_1) | instid1(VALU_DEP_2)
	v_fmac_f32_e32 v40, v42, v34
	v_mul_f32_e32 v42, v22, v37
	v_fma_f32 v28, -v31, v40, v35
	s_delay_alu instid0(VALU_DEP_2) | instskip(NEXT) | instid1(VALU_DEP_2)
	v_fma_f32 v31, -v21, v42, v22
	v_div_fmas_f32 v26, v28, v34, v40
	s_mov_b32 vcc_lo, s2
	s_delay_alu instid0(VALU_DEP_1) | instskip(SKIP_4) | instid1(VALU_DEP_1)
	v_div_fixup_f32 v11, v26, v19, v27
	v_rcp_f32_e32 v26, v25
	v_div_scale_f32 v27, s1, v18, v24, v18
	s_waitcnt_depctr 0xfff
	v_fma_f32 v34, -v25, v26, 1.0
	v_fmac_f32_e32 v26, v34, v26
	v_fmac_f32_e32 v42, v31, v37
	v_mul_f32_e32 v31, v39, v33
	v_mul_f32_e32 v23, v30, v32
	s_delay_alu instid0(VALU_DEP_3) | instskip(NEXT) | instid1(VALU_DEP_3)
	v_fma_f32 v21, -v21, v42, v22
	v_fma_f32 v22, -v38, v31, v39
	s_delay_alu instid0(VALU_DEP_3) | instskip(NEXT) | instid1(VALU_DEP_3)
	v_fma_f32 v28, -v29, v23, v30
	v_div_fmas_f32 v21, v21, v37, v42
	s_delay_alu instid0(VALU_DEP_3) | instskip(NEXT) | instid1(VALU_DEP_3)
	v_dual_fmac_f32 v31, v22, v33 :: v_dual_mul_f32 v22, v27, v10
	v_fmac_f32_e32 v23, v28, v32
	ds_bpermute_b32 v28, v17, v5
	s_mov_b32 vcc_lo, s0
	v_div_scale_f32 v34, s0, v6, v19, v6
	v_fma_f32 v29, -v29, v23, v30
	ds_bpermute_b32 v30, v17, v19
	s_waitcnt lgkmcnt(2)
	v_add_f32_e32 v8, v8, v9
	v_div_fmas_f32 v23, v29, v32, v23
	v_fma_f32 v29, -v38, v31, v39
	s_mov_b32 vcc_lo, s3
	v_fma_f32 v32, -v7, v22, v27
	s_delay_alu instid0(VALU_DEP_3) | instskip(NEXT) | instid1(VALU_DEP_3)
	v_div_fixup_f32 v14, v23, v19, v14
	v_div_fmas_f32 v29, v29, v33, v31
	s_mov_b32 vcc_lo, s1
	s_waitcnt lgkmcnt(1)
	v_sub_f32_e32 v9, v28, v5
	v_mul_f32_e32 v31, v34, v26
	v_div_fixup_f32 v2, v29, v16, v2
	s_waitcnt lgkmcnt(0)
	s_delay_alu instid0(VALU_DEP_3) | instskip(NEXT) | instid1(VALU_DEP_3)
	v_mul_f32_e32 v28, v9, v30
	v_fma_f32 v16, -v25, v31, v34
	v_sub_f32_e32 v29, v19, v30
	s_delay_alu instid0(VALU_DEP_2)
	v_fmac_f32_e32 v31, v16, v26
	v_div_fixup_f32 v16, v21, v24, v20
	v_fmac_f32_e32 v22, v32, v10
	ds_bpermute_b32 v20, v17, v4
	v_add_f32_e32 v13, v13, v16
	v_fma_f32 v7, -v7, v22, v27
	v_dual_add_f32 v27, v19, v30 :: v_dual_mul_f32 v16, v9, v9
	v_add_f32_e32 v2, v8, v2
	v_fma_f32 v8, -v25, v31, v34
	s_delay_alu instid0(VALU_DEP_4) | instskip(SKIP_2) | instid1(VALU_DEP_3)
	v_div_fmas_f32 v7, v7, v10, v22
	s_mov_b32 vcc_lo, s0
	v_mul_f32_e32 v34, 0x40400000, v9
	v_div_fmas_f32 v8, v8, v26, v31
	s_delay_alu instid0(VALU_DEP_3) | instskip(SKIP_1) | instid1(VALU_DEP_3)
	v_div_fixup_f32 v7, v7, v24, v18
	v_mul_f32_e32 v26, v27, v27
	v_div_fixup_f32 v6, v8, v19, v6
	s_delay_alu instid0(VALU_DEP_3) | instskip(SKIP_3) | instid1(VALU_DEP_3)
	v_dual_add_f32 v2, v7, v2 :: v_dual_add_f32 v7, v12, v11
	v_div_scale_f32 v10, null, v27, v27, v28
	v_dual_mul_f32 v11, v19, v16 :: v_dual_add_f32 v8, v14, v13
	v_mul_f32_e32 v13, v9, v16
	v_rcp_f32_e32 v18, v10
	v_add_f32_e32 v2, v6, v2
	s_delay_alu instid0(VALU_DEP_3)
	v_mul_f32_e32 v11, v11, v30
	ds_bpermute_b32 v6, v17, v3
	v_mul_f32_e32 v21, v19, v13
	ds_bpermute_b32 v22, v17, v7
	ds_bpermute_b32 v32, v17, v8
	v_div_scale_f32 v14, null, v27, v27, v11
	v_mul_f32_e32 v21, v21, v30
	v_fma_f32 v12, -v10, v18, 1.0
	v_mul_f32_e32 v13, v9, v13
	s_delay_alu instid0(VALU_DEP_4) | instskip(SKIP_1) | instid1(VALU_DEP_3)
	v_rcp_f32_e32 v25, v14
	v_dual_mul_f32 v33, v27, v26 :: v_dual_mul_f32 v16, 0x40c00000, v16
	v_dual_fmac_f32 v18, v12, v18 :: v_dual_mul_f32 v21, v29, v21
	v_div_scale_f32 v12, vcc_lo, v28, v27, v28
	ds_bpermute_b32 v17, v17, v2
	v_mul_f32_e32 v9, 4.0, v9
	v_mul_f32_e32 v23, v12, v18
	v_fma_f32 v29, -v14, v25, 1.0
	s_delay_alu instid0(VALU_DEP_2) | instskip(NEXT) | instid1(VALU_DEP_2)
	v_fma_f32 v31, -v10, v23, v12
	v_fmac_f32_e32 v25, v29, v25
	s_delay_alu instid0(VALU_DEP_2) | instskip(SKIP_1) | instid1(VALU_DEP_2)
	v_fmac_f32_e32 v23, v31, v18
	v_div_scale_f32 v31, null, v26, v26, v21
	v_fma_f32 v10, -v10, v23, v12
	v_div_scale_f32 v12, s0, v11, v27, v11
	s_delay_alu instid0(VALU_DEP_3) | instskip(SKIP_4) | instid1(VALU_DEP_2)
	v_rcp_f32_e32 v29, v31
	s_waitcnt lgkmcnt(0)
	v_add_f32_e32 v2, v2, v17
	v_div_fmas_f32 v10, v10, v18, v23
	v_cmp_gt_f32_e32 vcc_lo, v3, v6
	v_div_fixup_f32 v10, v10, v27, v28
	v_cndmask_b32_e32 v3, v3, v6, vcc_lo
	v_mul_f32_e32 v6, v7, v30
	s_delay_alu instid0(TRANS32_DEP_1)
	v_fma_f32 v28, -v31, v29, 1.0
	s_mov_b32 vcc_lo, s0
	v_add_f32_e32 v5, v5, v10
	v_add_f32_e32 v10, v7, v22
	v_mul_f32_e32 v18, v12, v25
	v_fma_f32 v6, v19, v22, -v6
	v_fmac_f32_e32 v29, v28, v29
	v_fma_f32 v28, -v19, v30, v24
	v_mul_f32_e32 v13, v19, v13
	v_fma_f32 v23, -v14, v18, v12
	v_mul_f32_e32 v6, v34, v6
	s_delay_alu instid0(VALU_DEP_4) | instskip(NEXT) | instid1(VALU_DEP_3)
	v_fmac_f32_e32 v28, v30, v30
	v_dual_mul_f32 v13, v13, v30 :: v_dual_fmac_f32 v18, v23, v25
	v_div_scale_f32 v23, s1, v21, v26, v21
	s_delay_alu instid0(VALU_DEP_4) | instskip(NEXT) | instid1(VALU_DEP_3)
	v_div_scale_f32 v34, null, v27, v27, v6
	v_fma_f32 v12, -v14, v18, v12
	s_delay_alu instid0(VALU_DEP_3) | instskip(SKIP_1) | instid1(VALU_DEP_4)
	v_mul_f32_e32 v14, v23, v29
	v_mul_f32_e32 v13, v28, v13
	v_rcp_f32_e32 v35, v34
	v_mul_f32_e32 v22, v24, v22
	v_div_fmas_f32 v12, v12, v25, v18
	v_mul_f32_e32 v18, v30, v30
	v_div_scale_f32 v25, null, v33, v33, v13
	v_cmp_gt_u32_e32 vcc_lo, 4, v1
	v_fma_f32 v24, -v31, v14, v23
	s_delay_alu instid0(VALU_DEP_4) | instskip(NEXT) | instid1(VALU_DEP_4)
	v_fmac_f32_e32 v22, v18, v7
	v_rcp_f32_e32 v28, v25
	v_add_f32_e32 v18, v8, v32
	v_cndmask_b32_e64 v1, 0, 1, vcc_lo
	v_mul_f32_e32 v8, v8, v30
	v_mul_f32_e32 v16, v16, v22
	s_mov_b32 vcc_lo, s1
	v_fma_f32 v7, -v34, v35, 1.0
	v_lshlrev_b32_e32 v1, 2, v1
	v_fma_f32 v8, v19, v32, -v8
	v_div_scale_f32 v19, s2, v13, v33, v13
	v_fmac_f32_e32 v14, v24, v29
	v_fma_f32 v24, -v25, v28, 1.0
	s_delay_alu instid0(VALU_DEP_4) | instskip(SKIP_2) | instid1(VALU_DEP_4)
	v_mul_f32_e32 v8, v9, v8
	v_add_lshl_u32 v37, v1, v15, 2
	v_div_scale_f32 v22, null, v26, v26, v16
	v_dual_fmac_f32 v28, v24, v28 :: v_dual_fmac_f32 v35, v7, v35
	v_div_scale_f32 v7, s0, v6, v27, v6
	v_div_scale_f32 v1, s3, v16, v26, v16
	s_delay_alu instid0(VALU_DEP_3) | instskip(SKIP_3) | instid1(VALU_DEP_2)
	v_mul_f32_e32 v9, v19, v28
	v_fma_f32 v23, -v31, v14, v23
	v_rcp_f32_e32 v31, v22
	v_div_fixup_f32 v11, v12, v27, v11
	v_div_fmas_f32 v14, v23, v29, v14
	ds_bpermute_b32 v23, v37, v5
	ds_bpermute_b32 v29, v37, v27
	s_mov_b32 vcc_lo, s0
	v_div_fixup_f32 v14, v14, v26, v21
	v_fma_f32 v32, -v22, v31, 1.0
	s_delay_alu instid0(VALU_DEP_1) | instskip(SKIP_1) | instid1(VALU_DEP_1)
	v_fmac_f32_e32 v31, v32, v31
	v_div_scale_f32 v36, null, v27, v27, v8
	v_rcp_f32_e32 v32, v36
	s_waitcnt lgkmcnt(1)
	v_sub_f32_e32 v17, v23, v5
	s_waitcnt lgkmcnt(0)
	s_delay_alu instid0(VALU_DEP_1) | instskip(NEXT) | instid1(VALU_DEP_1)
	v_dual_mul_f32 v30, v7, v35 :: v_dual_mul_f32 v23, v17, v29
	v_fma_f32 v24, -v34, v30, v7
	s_delay_alu instid0(VALU_DEP_1) | instskip(SKIP_1) | instid1(VALU_DEP_2)
	v_fmac_f32_e32 v30, v24, v35
	v_fma_f32 v24, -v25, v9, v19
	v_fma_f32 v7, -v34, v30, v7
	s_delay_alu instid0(VALU_DEP_2) | instskip(SKIP_1) | instid1(VALU_DEP_3)
	v_fmac_f32_e32 v9, v24, v28
	v_fma_f32 v34, -v36, v32, 1.0
	v_div_fmas_f32 v7, v7, v35, v30
	s_delay_alu instid0(VALU_DEP_3) | instskip(NEXT) | instid1(VALU_DEP_3)
	v_fma_f32 v19, -v25, v9, v19
	v_fmac_f32_e32 v32, v34, v32
	v_div_scale_f32 v30, s0, v8, v27, v8
	v_mul_f32_e32 v24, v1, v31
	s_mov_b32 vcc_lo, s2
	v_div_fixup_f32 v6, v7, v27, v6
	v_div_fmas_f32 v9, v19, v28, v9
	v_mul_f32_e32 v19, v30, v32
	v_fma_f32 v25, -v22, v24, v1
	s_mov_b32 vcc_lo, s3
	s_delay_alu instid0(VALU_DEP_3) | instskip(NEXT) | instid1(VALU_DEP_2)
	v_div_fixup_f32 v9, v9, v33, v13
	v_fmac_f32_e32 v24, v25, v31
	s_delay_alu instid0(VALU_DEP_2) | instskip(NEXT) | instid1(VALU_DEP_2)
	v_add_f32_e32 v2, v2, v9
	v_fma_f32 v13, -v22, v24, v1
	v_fma_f32 v22, -v36, v19, v30
	v_add_f32_e32 v1, v27, v29
	s_delay_alu instid0(VALU_DEP_2) | instskip(NEXT) | instid1(VALU_DEP_4)
	v_fmac_f32_e32 v19, v22, v32
	v_div_fmas_f32 v13, v13, v31, v24
	s_mov_b32 vcc_lo, s0
	s_delay_alu instid0(VALU_DEP_3) | instskip(NEXT) | instid1(VALU_DEP_3)
	v_div_scale_f32 v22, null, v1, v1, v23
	v_fma_f32 v9, -v36, v19, v30
	s_delay_alu instid0(VALU_DEP_3) | instskip(SKIP_1) | instid1(VALU_DEP_4)
	v_div_fixup_f32 v13, v13, v26, v16
	v_sub_f32_e32 v31, v27, v29
	v_rcp_f32_e32 v16, v22
	s_delay_alu instid0(VALU_DEP_3) | instskip(SKIP_1) | instid1(VALU_DEP_2)
	v_div_fmas_f32 v9, v9, v32, v19
	v_cmp_lt_f32_e32 vcc_lo, v4, v20
	v_div_fixup_f32 v7, v9, v27, v8
	v_dual_cndmask_b32 v4, v4, v20 :: v_dual_add_f32 v9, v10, v11
	v_mul_f32_e32 v10, v17, v17
	s_waitcnt_depctr 0xfff
	v_fma_f32 v8, -v22, v16, 1.0
	v_mul_f32_e32 v20, v1, v1
	v_mul_f32_e32 v19, v17, v10
	v_add_f32_e32 v2, v13, v2
	ds_bpermute_b32 v13, v37, v9
	v_mul_f32_e32 v25, v27, v19
	v_dual_mul_f32 v19, v17, v19 :: v_dual_fmac_f32 v16, v8, v16
	ds_bpermute_b32 v8, v37, v3
	v_add_f32_e32 v7, v7, v2
	v_mul_f32_e32 v25, v25, v29
	v_mul_f32_e32 v19, v27, v19
	;; [unrolled: 1-line block ×3, first 2 shown]
	v_add_f32_e32 v12, v18, v14
	v_div_scale_f32 v2, vcc_lo, v23, v1, v23
	s_delay_alu instid0(VALU_DEP_4) | instskip(NEXT) | instid1(VALU_DEP_3)
	v_dual_mul_f32 v19, v19, v29 :: v_dual_mul_f32 v10, 0x40c00000, v10
	v_dual_mul_f32 v11, v11, v29 :: v_dual_add_f32 v6, v6, v12
	s_delay_alu instid0(VALU_DEP_3)
	v_mul_f32_e32 v14, v2, v16
	ds_bpermute_b32 v12, v37, v4
	ds_bpermute_b32 v28, v37, v7
	v_div_scale_f32 v24, null, v1, v1, v11
	v_fma_f32 v21, -v22, v14, v2
	ds_bpermute_b32 v18, v37, v6
	s_waitcnt lgkmcnt(3)
	v_cmp_gt_f32_e64 s0, v3, v8
	v_fmac_f32_e32 v14, v21, v16
	v_rcp_f32_e32 v21, v24
	s_delay_alu instid0(VALU_DEP_1) | instskip(NEXT) | instid1(VALU_DEP_3)
	v_fma_f32 v22, -v22, v14, v2
	v_cndmask_b32_e64 v2, v3, v8, s0
	v_mul_f32_e32 v3, v31, v25
	v_mul_f32_e32 v25, 0x40400000, v17
	s_delay_alu instid0(VALU_DEP_4) | instskip(SKIP_1) | instid1(VALU_DEP_4)
	v_div_fmas_f32 v8, v22, v16, v14
	v_mul_f32_e32 v14, v9, v29
	v_div_scale_f32 v22, null, v20, v20, v3
	s_delay_alu instid0(TRANS32_DEP_1) | instskip(NEXT) | instid1(VALU_DEP_4)
	v_fma_f32 v16, -v24, v21, 1.0
	v_div_fixup_f32 v8, v8, v1, v23
	s_delay_alu instid0(VALU_DEP_4) | instskip(NEXT) | instid1(VALU_DEP_4)
	v_fma_f32 v14, v27, v13, -v14
	v_rcp_f32_e32 v31, v22
	s_waitcnt lgkmcnt(1)
	v_add_f32_e32 v7, v7, v28
	v_fmac_f32_e32 v21, v16, v21
	v_div_scale_f32 v16, vcc_lo, v11, v1, v11
	v_mul_f32_e32 v14, v25, v14
	v_fma_f32 v25, -v27, v29, v26
	v_mul_f32_e32 v26, v26, v13
	s_delay_alu instid0(VALU_DEP_4) | instskip(NEXT) | instid1(TRANS32_DEP_1)
	v_mul_f32_e32 v32, v16, v21
	v_fma_f32 v34, -v22, v31, 1.0
	v_div_scale_f32 v33, null, v1, v1, v14
	v_fmac_f32_e32 v25, v29, v29
	s_delay_alu instid0(VALU_DEP_4) | instskip(NEXT) | instid1(VALU_DEP_4)
	v_fma_f32 v23, -v24, v32, v16
	v_dual_fmac_f32 v31, v34, v31 :: v_dual_mul_f32 v30, v1, v20
	s_delay_alu instid0(VALU_DEP_4) | instskip(NEXT) | instid1(VALU_DEP_3)
	v_rcp_f32_e32 v35, v33
	v_mul_f32_e32 v19, v25, v19
	v_mul_f32_e32 v25, v29, v29
	;; [unrolled: 1-line block ×3, first 2 shown]
	s_waitcnt lgkmcnt(0)
	v_add_f32_e32 v6, v6, v18
	v_div_scale_f32 v34, null, v30, v30, v19
	s_delay_alu instid0(VALU_DEP_3) | instskip(NEXT) | instid1(TRANS32_DEP_1)
	v_fma_f32 v27, v27, v18, -v29
	v_fma_f32 v36, -v33, v35, 1.0
	s_delay_alu instid0(VALU_DEP_3) | instskip(NEXT) | instid1(VALU_DEP_1)
	v_rcp_f32_e32 v37, v34
	v_fmac_f32_e32 v35, v36, v35
	v_div_scale_f32 v36, s1, v14, v1, v14
	v_fmac_f32_e32 v26, v25, v9
	v_div_scale_f32 v25, s0, v3, v20, v3
	s_delay_alu instid0(VALU_DEP_3) | instskip(NEXT) | instid1(VALU_DEP_2)
	v_dual_mul_f32 v29, v36, v35 :: v_dual_fmac_f32 v32, v23, v21
	v_dual_mul_f32 v10, v10, v26 :: v_dual_mul_f32 v23, v25, v31
	s_delay_alu instid0(TRANS32_DEP_1) | instskip(SKIP_1) | instid1(VALU_DEP_4)
	v_fma_f32 v38, -v34, v37, 1.0
	v_add_f32_e32 v9, v9, v13
	v_fma_f32 v16, -v24, v32, v16
	s_delay_alu instid0(VALU_DEP_4) | instskip(SKIP_3) | instid1(VALU_DEP_4)
	v_div_scale_f32 v26, null, v20, v20, v10
	v_fma_f32 v24, -v22, v23, v25
	v_fmac_f32_e32 v37, v38, v37
	v_div_scale_f32 v42, s3, v10, v20, v10
	v_rcp_f32_e32 v39, v26
	s_delay_alu instid0(VALU_DEP_3) | instskip(SKIP_3) | instid1(VALU_DEP_3)
	v_fmac_f32_e32 v23, v24, v31
	v_fma_f32 v24, -v33, v29, v36
	v_div_fmas_f32 v16, v16, v21, v32
	s_mov_b32 vcc_lo, s0
	v_fma_f32 v21, -v22, v23, v25
	s_delay_alu instid0(VALU_DEP_3) | instskip(NEXT) | instid1(VALU_DEP_3)
	v_fmac_f32_e32 v29, v24, v35
	v_div_fixup_f32 v11, v16, v1, v11
	s_delay_alu instid0(TRANS32_DEP_1) | instskip(NEXT) | instid1(VALU_DEP_4)
	v_fma_f32 v38, -v26, v39, 1.0
	v_div_fmas_f32 v21, v21, v31, v23
	s_delay_alu instid0(VALU_DEP_4)
	v_fma_f32 v23, -v33, v29, v36
	s_mov_b32 vcc_lo, s1
	v_add_f32_e32 v9, v9, v11
	v_fmac_f32_e32 v39, v38, v39
	v_div_fixup_f32 v3, v21, v20, v3
	v_div_fmas_f32 v23, v23, v35, v29
	s_delay_alu instid0(VALU_DEP_3) | instskip(NEXT) | instid1(VALU_DEP_3)
	v_dual_mul_f32 v24, v42, v39 :: v_dual_mul_f32 v17, 4.0, v17
	v_add_f32_e32 v6, v6, v3
	s_delay_alu instid0(VALU_DEP_3) | instskip(NEXT) | instid1(VALU_DEP_3)
	v_div_fixup_f32 v14, v23, v1, v14
	v_mul_f32_e32 v17, v17, v27
	v_div_scale_f32 v27, s2, v19, v30, v19
	s_delay_alu instid0(VALU_DEP_1) | instskip(NEXT) | instid1(VALU_DEP_2)
	s_mov_b32 vcc_lo, s2
	v_div_scale_f32 v40, null, v1, v1, v17
	s_delay_alu instid0(VALU_DEP_2) | instskip(NEXT) | instid1(VALU_DEP_2)
	v_mul_f32_e32 v41, v27, v37
	v_rcp_f32_e32 v38, v40
	s_delay_alu instid0(VALU_DEP_1) | instskip(NEXT) | instid1(VALU_DEP_1)
	v_fma_f32 v22, -v34, v41, v27
	v_fmac_f32_e32 v41, v22, v37
	v_fma_f32 v22, -v26, v24, v42
	s_waitcnt_depctr 0xfff
	v_fma_f32 v25, -v40, v38, 1.0
	v_fma_f32 v27, -v34, v41, v27
	v_fmac_f32_e32 v24, v22, v39
	s_delay_alu instid0(VALU_DEP_3) | instskip(SKIP_1) | instid1(VALU_DEP_4)
	v_fmac_f32_e32 v38, v25, v38
	v_div_scale_f32 v25, s0, v17, v1, v17
	v_div_fmas_f32 v22, v27, v37, v41
	s_delay_alu instid0(VALU_DEP_4) | instskip(SKIP_1) | instid1(VALU_DEP_3)
	v_fma_f32 v13, -v26, v24, v42
	s_mov_b32 vcc_lo, s3
	v_mul_f32_e32 v29, v25, v38
	s_delay_alu instid0(VALU_DEP_3) | instskip(NEXT) | instid1(VALU_DEP_3)
	v_div_fixup_f32 v19, v22, v30, v19
	v_div_fmas_f32 v13, v13, v39, v24
	s_mov_b32 vcc_lo, s0
	s_delay_alu instid0(VALU_DEP_3) | instskip(NEXT) | instid1(VALU_DEP_3)
	v_fma_f32 v27, -v40, v29, v25
	v_add_f32_e32 v7, v7, v19
	s_delay_alu instid0(VALU_DEP_3) | instskip(NEXT) | instid1(VALU_DEP_3)
	v_div_fixup_f32 v10, v13, v20, v10
	v_fmac_f32_e32 v29, v27, v38
	s_delay_alu instid0(VALU_DEP_2) | instskip(SKIP_1) | instid1(VALU_DEP_3)
	v_add_f32_e32 v7, v10, v7
	v_add_f32_e32 v10, v14, v6
	v_fma_f32 v18, -v40, v29, v25
	s_delay_alu instid0(VALU_DEP_1) | instskip(SKIP_1) | instid1(VALU_DEP_2)
	v_div_fmas_f32 v13, v18, v38, v29
	v_cmp_lt_f32_e32 vcc_lo, v4, v12
	v_div_fixup_f32 v13, v13, v1, v17
	v_cndmask_b32_e32 v3, v4, v12, vcc_lo
	v_add_f32_e32 v4, v5, v8
	s_delay_alu instid0(VALU_DEP_3)
	v_add_f32_e32 v11, v13, v7
.LBB7_5:
	s_or_b32 exec_lo, exec_lo, s4
	s_branch .LBB7_34
.LBB7_6:
                                        ; implicit-def: $vgpr1
                                        ; implicit-def: $vgpr9
	s_cbranch_execz .LBB7_34
; %bb.7:
	s_sub_i32 s4, s8, s7
	s_mov_b32 s0, exec_lo
                                        ; implicit-def: $vgpr11
                                        ; implicit-def: $vgpr4
	v_cmpx_gt_u32_e64 s4, v0
; %bb.8:
	v_mad_u64_u32 v[5:6], null, v0, 28, s[26:27]
	s_clause 0x1
	global_load_b128 v[1:4], v[5:6], off
	global_load_b96 v[9:11], v[5:6], off offset:16
; %bb.9:
	s_or_b32 exec_lo, exec_lo, s0
	v_or_b32_e32 v5, 0x100, v0
                                        ; implicit-def: $vgpr12
                                        ; implicit-def: $vgpr8
	s_delay_alu instid0(VALU_DEP_1)
	v_cmp_gt_u32_e32 vcc_lo, s4, v5
	s_and_saveexec_b32 s0, vcc_lo
; %bb.10:
	v_mad_u64_u32 v[12:13], null, v5, 28, s[26:27]
	s_clause 0x1
	global_load_b128 v[5:8], v[12:13], off
	global_load_b96 v[12:14], v[12:13], off offset:16
; %bb.11:
	s_or_b32 exec_lo, exec_lo, s0
	s_and_saveexec_b32 s5, vcc_lo
	s_cbranch_execz .LBB7_13
; %bb.12:
	s_waitcnt vmcnt(1)
	v_dual_sub_f32 v8, v8, v4 :: v_dual_sub_f32 v19, v1, v5
	v_add_f32_e32 v16, v1, v5
	v_cmp_lt_f32_e32 vcc_lo, v6, v2
	s_waitcnt vmcnt(0)
	v_dual_mul_f32 v40, v5, v5 :: v_dual_add_f32 v11, v11, v14
	v_mul_f32_e32 v17, v8, v8
	v_dual_mul_f32 v23, v1, v1 :: v_dual_mul_f32 v26, v16, v16
	v_cndmask_b32_e32 v2, v2, v6, vcc_lo
	v_dual_mul_f32 v6, v8, v5 :: v_dual_mul_f32 v27, 0x40400000, v8
	s_delay_alu instid0(VALU_DEP_4) | instskip(SKIP_2) | instid1(VALU_DEP_4)
	v_mul_f32_e32 v24, v8, v17
	v_mul_f32_e32 v21, v1, v17
	v_fma_f32 v30, -v1, v5, v23
	v_div_scale_f32 v20, null, v16, v16, v6
	s_delay_alu instid0(VALU_DEP_4) | instskip(SKIP_1) | instid1(VALU_DEP_3)
	v_dual_mul_f32 v28, v1, v24 :: v_dual_mul_f32 v37, v16, v26
	v_div_scale_f32 v33, vcc_lo, v6, v16, v6
	v_rcp_f32_e32 v25, v20
	s_delay_alu instid0(VALU_DEP_2) | instskip(SKIP_2) | instid1(VALU_DEP_3)
	v_mul_f32_e32 v28, v5, v28
	v_mul_f32_e32 v22, v9, v5
	v_mul_f32_e32 v17, 0x40c00000, v17
	v_mul_f32_e32 v19, v19, v28
	s_delay_alu instid0(VALU_DEP_3) | instskip(SKIP_1) | instid1(TRANS32_DEP_1)
	v_fma_f32 v22, v1, v12, -v22
	v_mul_f32_e32 v21, v5, v21
	v_fma_f32 v31, -v20, v25, 1.0
	v_add_f32_e32 v18, v9, v12
	s_delay_alu instid0(VALU_DEP_4) | instskip(NEXT) | instid1(VALU_DEP_4)
	v_mul_f32_e32 v22, v27, v22
	v_div_scale_f32 v29, null, v16, v16, v21
	s_delay_alu instid0(VALU_DEP_4) | instskip(SKIP_1) | instid1(VALU_DEP_3)
	v_fmac_f32_e32 v25, v31, v25
	v_div_scale_f32 v27, null, v26, v26, v19
	v_rcp_f32_e32 v32, v29
	v_mul_f32_e32 v9, v9, v40
	s_delay_alu instid0(VALU_DEP_3) | instskip(NEXT) | instid1(VALU_DEP_3)
	v_mul_f32_e32 v28, v33, v25
	v_rcp_f32_e32 v35, v27
	v_mul_f32_e32 v24, v8, v24
	v_div_scale_f32 v34, s0, v21, v16, v21
	v_fmac_f32_e32 v9, v23, v12
	v_fma_f32 v36, -v20, v28, v33
	v_div_scale_f32 v12, s1, v19, v26, v19
	s_delay_alu instid0(TRANS32_DEP_2) | instskip(NEXT) | instid1(VALU_DEP_4)
	v_fma_f32 v31, -v29, v32, 1.0
	v_mul_f32_e32 v9, v17, v9
	s_delay_alu instid0(TRANS32_DEP_1)
	v_fma_f32 v39, -v27, v35, 1.0
	v_fmac_f32_e32 v28, v36, v25
	v_mul_f32_e32 v24, v1, v24
	v_fmac_f32_e32 v32, v31, v32
	v_div_scale_f32 v31, null, v16, v16, v22
	v_fmac_f32_e32 v35, v39, v35
	v_fma_f32 v20, -v20, v28, v33
	s_delay_alu instid0(VALU_DEP_4) | instskip(NEXT) | instid1(VALU_DEP_4)
	v_mul_f32_e32 v36, v34, v32
	v_rcp_f32_e32 v38, v31
	v_mul_f32_e32 v8, 4.0, v8
	v_mul_f32_e32 v24, v5, v24
	v_div_fmas_f32 v20, v20, v25, v28
	v_fma_f32 v33, -v29, v36, v34
	s_mov_b32 vcc_lo, s0
	s_delay_alu instid0(VALU_DEP_2) | instskip(NEXT) | instid1(VALU_DEP_2)
	v_div_fixup_f32 v6, v20, v16, v6
	v_fmac_f32_e32 v36, v33, v32
	s_delay_alu instid0(TRANS32_DEP_1) | instskip(NEXT) | instid1(VALU_DEP_3)
	v_fma_f32 v23, -v31, v38, 1.0
	v_add_f32_e32 v4, v4, v6
	s_delay_alu instid0(VALU_DEP_3) | instskip(SKIP_1) | instid1(VALU_DEP_4)
	v_fma_f32 v17, -v29, v36, v34
	v_dual_mul_f32 v29, v12, v35 :: v_dual_fmac_f32 v30, v5, v5
	v_fmac_f32_e32 v38, v23, v38
	v_div_scale_f32 v23, null, v26, v26, v9
	v_mul_f32_e32 v5, v10, v5
	v_div_fmas_f32 v17, v17, v32, v36
	v_add_f32_e32 v10, v10, v13
	s_mov_b32 vcc_lo, s1
	s_delay_alu instid0(VALU_DEP_3) | instskip(SKIP_1) | instid1(VALU_DEP_1)
	v_fma_f32 v1, v1, v13, -v5
	v_rcp_f32_e32 v5, v23
	v_mul_f32_e32 v1, v8, v1
	v_fma_f32 v8, -v27, v29, v12
	s_waitcnt_depctr 0xfff
	v_fma_f32 v36, -v23, v5, 1.0
	v_dual_fmac_f32 v29, v8, v35 :: v_dual_mul_f32 v24, v30, v24
	v_div_scale_f32 v30, s2, v22, v16, v22
	s_delay_alu instid0(VALU_DEP_3) | instskip(SKIP_1) | instid1(VALU_DEP_4)
	v_fmac_f32_e32 v5, v36, v5
	v_div_scale_f32 v36, s3, v9, v26, v9
	v_div_scale_f32 v25, null, v37, v37, v24
	v_div_scale_f32 v34, s0, v24, v37, v24
	s_delay_alu instid0(VALU_DEP_3) | instskip(NEXT) | instid1(VALU_DEP_3)
	v_mul_f32_e32 v13, v36, v5
	v_rcp_f32_e32 v28, v25
	v_mul_f32_e32 v32, v30, v38
	v_fma_f32 v12, -v27, v29, v12
	s_delay_alu instid0(VALU_DEP_2) | instskip(NEXT) | instid1(VALU_DEP_2)
	v_fma_f32 v8, -v31, v32, v30
	v_div_fmas_f32 v12, v12, v35, v29
	s_mov_b32 vcc_lo, s2
	s_waitcnt_depctr 0xfff
	v_fma_f32 v33, -v25, v28, 1.0
	v_fmac_f32_e32 v32, v8, v38
	v_div_fixup_f32 v12, v12, v26, v19
	s_delay_alu instid0(VALU_DEP_3) | instskip(SKIP_1) | instid1(VALU_DEP_4)
	v_fmac_f32_e32 v28, v33, v28
	v_div_scale_f32 v33, null, v16, v16, v1
	v_fma_f32 v29, -v31, v32, v30
	s_delay_alu instid0(VALU_DEP_4) | instskip(NEXT) | instid1(VALU_DEP_4)
	v_add_f32_e32 v10, v10, v12
	v_mul_f32_e32 v40, v34, v28
	s_delay_alu instid0(VALU_DEP_4) | instskip(NEXT) | instid1(VALU_DEP_3)
	v_rcp_f32_e32 v39, v33
	v_div_fmas_f32 v29, v29, v38, v32
	s_mov_b32 vcc_lo, s0
	s_delay_alu instid0(VALU_DEP_2) | instskip(NEXT) | instid1(VALU_DEP_1)
	v_fma_f32 v8, -v25, v40, v34
	v_fmac_f32_e32 v40, v8, v28
	s_waitcnt_depctr 0xfff
	v_fma_f32 v27, -v33, v39, 1.0
	v_fma_f32 v8, -v23, v13, v36
	v_fma_f32 v25, -v25, v40, v34
	s_delay_alu instid0(VALU_DEP_3) | instskip(SKIP_1) | instid1(VALU_DEP_4)
	v_fmac_f32_e32 v39, v27, v39
	v_div_scale_f32 v27, s1, v1, v16, v1
	v_fmac_f32_e32 v13, v8, v5
	s_delay_alu instid0(VALU_DEP_4) | instskip(SKIP_1) | instid1(VALU_DEP_3)
	v_div_fmas_f32 v8, v25, v28, v40
	s_mov_b32 vcc_lo, s3
	v_mul_f32_e32 v30, v27, v39
	s_delay_alu instid0(VALU_DEP_3) | instskip(NEXT) | instid1(VALU_DEP_3)
	v_fma_f32 v14, -v23, v13, v36
	v_div_fixup_f32 v8, v8, v37, v24
	s_delay_alu instid0(VALU_DEP_3) | instskip(NEXT) | instid1(VALU_DEP_3)
	v_fma_f32 v25, -v33, v30, v27
	v_div_fmas_f32 v5, v14, v5, v13
	s_mov_b32 vcc_lo, s1
	v_div_fixup_f32 v13, v17, v16, v21
	s_delay_alu instid0(VALU_DEP_3) | instskip(SKIP_3) | instid1(VALU_DEP_4)
	v_fmac_f32_e32 v30, v25, v39
	v_add_f32_e32 v8, v11, v8
	v_div_fixup_f32 v5, v5, v26, v9
	v_div_fixup_f32 v11, v29, v16, v22
	v_fma_f32 v12, -v33, v30, v27
	s_delay_alu instid0(VALU_DEP_2) | instskip(NEXT) | instid1(VALU_DEP_2)
	v_dual_add_f32 v5, v5, v8 :: v_dual_add_f32 v10, v11, v10
	v_div_fmas_f32 v9, v12, v39, v30
	v_add_f32_e32 v12, v18, v13
	v_cmp_lt_f32_e32 vcc_lo, v3, v7
	s_delay_alu instid0(VALU_DEP_3) | instskip(NEXT) | instid1(VALU_DEP_3)
	v_div_fixup_f32 v1, v9, v16, v1
	v_mov_b32_e32 v9, v12
	v_cndmask_b32_e32 v3, v3, v7, vcc_lo
	s_delay_alu instid0(VALU_DEP_3)
	v_add_f32_e32 v11, v1, v5
	v_mov_b32_e32 v1, v16
.LBB7_13:
	s_or_b32 exec_lo, exec_lo, s5
	v_cmp_ne_u32_e32 vcc_lo, 31, v15
	s_min_u32 s4, s4, 0x100
	v_add_nc_u32_e32 v17, 1, v15
	s_mov_b32 s5, exec_lo
	s_waitcnt vmcnt(1)
	v_add_co_ci_u32_e32 v5, vcc_lo, 0, v15, vcc_lo
	s_delay_alu instid0(VALU_DEP_1)
	v_lshlrev_b32_e32 v5, 2, v5
	s_waitcnt vmcnt(0)
	ds_bpermute_b32 v12, v5, v1
	ds_bpermute_b32 v14, v5, v2
	;; [unrolled: 1-line block ×7, first 2 shown]
	v_and_b32_e32 v5, 0xe0, v0
	s_delay_alu instid0(VALU_DEP_1) | instskip(NEXT) | instid1(VALU_DEP_1)
	v_sub_nc_u32_e64 v5, s4, v5 clamp
	v_cmpx_lt_u32_e64 v17, v5
	s_cbranch_execz .LBB7_15
; %bb.14:
	s_waitcnt lgkmcnt(3)
	v_sub_f32_e32 v16, v16, v4
	v_cmp_gt_f32_e32 vcc_lo, v2, v14
	v_add_f32_e32 v17, v1, v12
	s_waitcnt lgkmcnt(0)
	v_add_f32_e32 v7, v11, v7
	v_dual_mul_f32 v19, v16, v16 :: v_dual_cndmask_b32 v2, v2, v14
	v_add_f32_e32 v14, v9, v13
	v_mul_f32_e32 v25, v17, v17
	s_delay_alu instid0(VALU_DEP_3) | instskip(SKIP_1) | instid1(VALU_DEP_2)
	v_dual_mul_f32 v23, v1, v19 :: v_dual_mul_f32 v18, v16, v12
	v_dual_mul_f32 v21, v9, v12 :: v_dual_mul_f32 v26, v16, v19
	;; [unrolled: 1-line block ×3, first 2 shown]
	s_delay_alu instid0(VALU_DEP_3) | instskip(NEXT) | instid1(VALU_DEP_3)
	v_div_scale_f32 v22, null, v17, v17, v18
	v_dual_mul_f32 v28, 0x40400000, v16 :: v_dual_mul_f32 v29, v1, v26
	s_delay_alu instid0(VALU_DEP_3) | instskip(NEXT) | instid1(VALU_DEP_3)
	v_div_scale_f32 v30, null, v17, v17, v23
	v_rcp_f32_e32 v27, v22
	v_fma_f32 v21, v1, v13, -v21
	v_sub_f32_e32 v20, v1, v12
	v_dual_mul_f32 v29, v29, v12 :: v_dual_mul_f32 v26, v16, v26
	v_rcp_f32_e32 v34, v30
	v_div_scale_f32 v35, vcc_lo, v18, v17, v18
	v_mul_f32_e32 v21, v28, v21
	v_div_scale_f32 v36, s0, v23, v17, v23
	s_delay_alu instid0(TRANS32_DEP_2) | instskip(SKIP_3) | instid1(VALU_DEP_4)
	v_fma_f32 v33, -v22, v27, 1.0
	v_mul_f32_e32 v20, v20, v29
	v_fma_f32 v31, -v1, v12, v24
	v_dual_mul_f32 v26, v1, v26 :: v_dual_mul_f32 v19, 0x40c00000, v19
	v_fmac_f32_e32 v27, v33, v27
	v_mul_f32_e32 v32, v17, v25
	v_fma_f32 v33, -v30, v34, 1.0
	v_div_scale_f32 v28, null, v25, v25, v20
	s_delay_alu instid0(VALU_DEP_4) | instskip(SKIP_2) | instid1(VALU_DEP_4)
	v_mul_f32_e32 v29, v35, v27
	v_fmac_f32_e32 v31, v12, v12
	v_dual_mul_f32 v26, v26, v12 :: v_dual_mul_f32 v13, v24, v13
	v_rcp_f32_e32 v37, v28
	s_delay_alu instid0(VALU_DEP_3) | instskip(SKIP_2) | instid1(VALU_DEP_3)
	v_fma_f32 v38, -v22, v29, v35
	v_fmac_f32_e32 v34, v33, v34
	v_div_scale_f32 v33, null, v17, v17, v21
	v_dual_mul_f32 v16, 4.0, v16 :: v_dual_fmac_f32 v29, v38, v27
	s_delay_alu instid0(VALU_DEP_3) | instskip(NEXT) | instid1(VALU_DEP_3)
	v_mul_f32_e32 v38, v36, v34
	v_rcp_f32_e32 v39, v33
	s_delay_alu instid0(TRANS32_DEP_2) | instskip(NEXT) | instid1(VALU_DEP_3)
	v_fma_f32 v40, -v28, v37, 1.0
	v_fma_f32 v22, -v22, v29, v35
	s_delay_alu instid0(VALU_DEP_3)
	v_fma_f32 v35, -v30, v38, v36
	v_mul_f32_e32 v26, v31, v26
	v_div_scale_f32 v31, s2, v21, v17, v21
	v_fmac_f32_e32 v37, v40, v37
	v_div_fmas_f32 v22, v22, v27, v29
	v_dual_fmac_f32 v38, v35, v34 :: v_dual_mul_f32 v27, v12, v12
	v_div_scale_f32 v24, null, v32, v32, v26
	v_mul_f32_e32 v12, v10, v12
	s_mov_b32 vcc_lo, s0
	s_delay_alu instid0(VALU_DEP_3) | instskip(SKIP_3) | instid1(VALU_DEP_3)
	v_fmac_f32_e32 v13, v9, v27
	v_div_scale_f32 v9, s1, v20, v25, v20
	v_fma_f32 v27, -v33, v39, 1.0
	v_rcp_f32_e32 v29, v24
	v_mul_f32_e32 v13, v19, v13
	v_fma_f32 v19, -v30, v38, v36
	s_delay_alu instid0(VALU_DEP_3) | instskip(SKIP_1) | instid1(VALU_DEP_4)
	v_dual_mul_f32 v30, v9, v37 :: v_dual_fmac_f32 v39, v27, v39
	v_fma_f32 v1, v1, v8, -v12
	v_div_scale_f32 v27, null, v25, v25, v13
	s_delay_alu instid0(VALU_DEP_4) | instskip(NEXT) | instid1(VALU_DEP_4)
	v_div_fmas_f32 v19, v19, v34, v38
	v_mul_f32_e32 v34, v31, v39
	s_delay_alu instid0(TRANS32_DEP_1) | instskip(NEXT) | instid1(VALU_DEP_4)
	v_fma_f32 v35, -v24, v29, 1.0
	v_rcp_f32_e32 v12, v27
	v_mul_f32_e32 v1, v16, v1
	v_fma_f32 v16, -v28, v30, v9
	v_div_scale_f32 v36, s0, v26, v32, v26
	s_mov_b32 vcc_lo, s1
	v_add_f32_e32 v8, v10, v8
	s_delay_alu instid0(VALU_DEP_3) | instskip(SKIP_1) | instid1(TRANS32_DEP_1)
	v_fmac_f32_e32 v30, v16, v37
	v_fma_f32 v16, -v33, v34, v31
	v_fma_f32 v38, -v27, v12, 1.0
	v_fmac_f32_e32 v29, v35, v29
	s_delay_alu instid0(VALU_DEP_4) | instskip(SKIP_1) | instid1(VALU_DEP_3)
	v_fma_f32 v9, -v28, v30, v9
	v_div_scale_f32 v35, null, v17, v17, v1
	v_dual_fmac_f32 v12, v38, v12 :: v_dual_mul_f32 v41, v36, v29
	v_div_scale_f32 v38, s3, v13, v25, v13
	s_delay_alu instid0(VALU_DEP_4) | instskip(NEXT) | instid1(VALU_DEP_4)
	v_div_fmas_f32 v9, v9, v37, v30
	v_rcp_f32_e32 v40, v35
	s_delay_alu instid0(VALU_DEP_3)
	v_fma_f32 v10, -v24, v41, v36
	v_fmac_f32_e32 v34, v16, v39
	v_mul_f32_e32 v16, v38, v12
	s_mov_b32 vcc_lo, s2
	v_div_fixup_f32 v9, v9, v25, v20
	v_fmac_f32_e32 v41, v10, v29
	v_fma_f32 v30, -v33, v34, v31
	v_fma_f32 v10, -v27, v16, v38
	s_delay_alu instid0(TRANS32_DEP_1) | instskip(NEXT) | instid1(VALU_DEP_4)
	v_fma_f32 v28, -v35, v40, 1.0
	v_fma_f32 v24, -v24, v41, v36
	s_delay_alu instid0(VALU_DEP_4) | instskip(NEXT) | instid1(VALU_DEP_4)
	v_div_fmas_f32 v30, v30, v39, v34
	v_fmac_f32_e32 v16, v10, v12
	s_mov_b32 vcc_lo, s0
	s_delay_alu instid0(VALU_DEP_3) | instskip(SKIP_1) | instid1(VALU_DEP_2)
	v_div_fmas_f32 v10, v24, v29, v41
	s_mov_b32 vcc_lo, s3
	v_fma_f32 v11, -v27, v16, v38
	s_delay_alu instid0(VALU_DEP_2) | instskip(NEXT) | instid1(VALU_DEP_2)
	v_div_fixup_f32 v10, v10, v32, v26
	v_div_fmas_f32 v11, v11, v12, v16
	v_div_fixup_f32 v12, v19, v17, v23
	s_delay_alu instid0(VALU_DEP_3) | instskip(NEXT) | instid1(VALU_DEP_3)
	v_add_f32_e32 v7, v7, v10
	v_div_fixup_f32 v10, v11, v25, v13
	v_fmac_f32_e32 v40, v28, v40
	v_div_scale_f32 v28, s1, v1, v17, v1
	s_delay_alu instid0(VALU_DEP_1) | instskip(NEXT) | instid1(VALU_DEP_3)
	s_mov_b32 vcc_lo, s1
	v_dual_add_f32 v7, v10, v7 :: v_dual_add_f32 v8, v8, v9
	s_delay_alu instid0(VALU_DEP_2) | instskip(SKIP_3) | instid1(VALU_DEP_4)
	v_mul_f32_e32 v31, v28, v40
	v_div_fixup_f32 v11, v30, v17, v21
	v_div_fixup_f32 v13, v22, v17, v18
	v_add_f32_e32 v12, v14, v12
	v_fma_f32 v24, -v35, v31, v28
	s_delay_alu instid0(VALU_DEP_4) | instskip(NEXT) | instid1(VALU_DEP_4)
	v_add_f32_e32 v10, v11, v8
	v_add_f32_e32 v4, v4, v13
	s_delay_alu instid0(VALU_DEP_3) | instskip(NEXT) | instid1(VALU_DEP_1)
	v_fmac_f32_e32 v31, v24, v40
	v_fma_f32 v9, -v35, v31, v28
	s_delay_alu instid0(VALU_DEP_1) | instskip(SKIP_1) | instid1(VALU_DEP_2)
	v_div_fmas_f32 v9, v9, v40, v31
	v_cmp_lt_f32_e32 vcc_lo, v3, v6
	v_div_fixup_f32 v1, v9, v17, v1
	v_cndmask_b32_e32 v3, v3, v6, vcc_lo
	s_delay_alu instid0(VALU_DEP_2)
	v_add_f32_e32 v11, v1, v7
	v_mov_b32_e32 v1, v17
	v_mov_b32_e32 v9, v12
.LBB7_15:
	s_or_b32 exec_lo, exec_lo, s5
	v_cmp_gt_u32_e32 vcc_lo, 30, v15
	v_add_nc_u32_e32 v17, 2, v15
	s_mov_b32 s5, exec_lo
	s_waitcnt lgkmcnt(4)
	v_cndmask_b32_e64 v6, 0, 1, vcc_lo
	s_delay_alu instid0(VALU_DEP_1) | instskip(SKIP_1) | instid1(VALU_DEP_1)
	v_lshlrev_b32_e32 v6, 1, v6
	s_waitcnt lgkmcnt(0)
	v_add_lshl_u32 v7, v6, v15, 2
	ds_bpermute_b32 v12, v7, v1
	ds_bpermute_b32 v14, v7, v2
	;; [unrolled: 1-line block ×7, first 2 shown]
	v_cmpx_lt_u32_e64 v17, v5
	s_cbranch_execz .LBB7_17
; %bb.16:
	s_waitcnt lgkmcnt(3)
	v_sub_f32_e32 v16, v16, v4
	v_cmp_gt_f32_e32 vcc_lo, v2, v14
	v_add_f32_e32 v17, v1, v12
	s_waitcnt lgkmcnt(0)
	v_add_f32_e32 v7, v11, v7
	v_dual_mul_f32 v19, v16, v16 :: v_dual_cndmask_b32 v2, v2, v14
	v_add_f32_e32 v14, v9, v13
	v_mul_f32_e32 v25, v17, v17
	s_delay_alu instid0(VALU_DEP_3) | instskip(SKIP_1) | instid1(VALU_DEP_2)
	v_dual_mul_f32 v23, v1, v19 :: v_dual_mul_f32 v18, v16, v12
	v_dual_mul_f32 v21, v9, v12 :: v_dual_mul_f32 v26, v16, v19
	;; [unrolled: 1-line block ×3, first 2 shown]
	s_delay_alu instid0(VALU_DEP_3) | instskip(NEXT) | instid1(VALU_DEP_3)
	v_div_scale_f32 v22, null, v17, v17, v18
	v_dual_mul_f32 v28, 0x40400000, v16 :: v_dual_mul_f32 v29, v1, v26
	s_delay_alu instid0(VALU_DEP_3) | instskip(NEXT) | instid1(VALU_DEP_3)
	v_div_scale_f32 v30, null, v17, v17, v23
	v_rcp_f32_e32 v27, v22
	v_fma_f32 v21, v1, v13, -v21
	v_sub_f32_e32 v20, v1, v12
	v_dual_mul_f32 v29, v29, v12 :: v_dual_mul_f32 v26, v16, v26
	v_rcp_f32_e32 v34, v30
	v_div_scale_f32 v35, vcc_lo, v18, v17, v18
	v_mul_f32_e32 v21, v28, v21
	v_div_scale_f32 v36, s0, v23, v17, v23
	s_delay_alu instid0(TRANS32_DEP_2) | instskip(SKIP_3) | instid1(VALU_DEP_4)
	v_fma_f32 v33, -v22, v27, 1.0
	v_mul_f32_e32 v20, v20, v29
	v_fma_f32 v31, -v1, v12, v24
	v_dual_mul_f32 v26, v1, v26 :: v_dual_mul_f32 v19, 0x40c00000, v19
	v_fmac_f32_e32 v27, v33, v27
	v_mul_f32_e32 v32, v17, v25
	v_fma_f32 v33, -v30, v34, 1.0
	v_div_scale_f32 v28, null, v25, v25, v20
	s_delay_alu instid0(VALU_DEP_4) | instskip(SKIP_2) | instid1(VALU_DEP_4)
	v_mul_f32_e32 v29, v35, v27
	v_fmac_f32_e32 v31, v12, v12
	v_dual_mul_f32 v26, v26, v12 :: v_dual_mul_f32 v13, v24, v13
	v_rcp_f32_e32 v37, v28
	s_delay_alu instid0(VALU_DEP_3) | instskip(SKIP_2) | instid1(VALU_DEP_3)
	v_fma_f32 v38, -v22, v29, v35
	v_fmac_f32_e32 v34, v33, v34
	v_div_scale_f32 v33, null, v17, v17, v21
	v_dual_mul_f32 v16, 4.0, v16 :: v_dual_fmac_f32 v29, v38, v27
	s_delay_alu instid0(VALU_DEP_3) | instskip(NEXT) | instid1(VALU_DEP_3)
	v_mul_f32_e32 v38, v36, v34
	v_rcp_f32_e32 v39, v33
	s_delay_alu instid0(TRANS32_DEP_2) | instskip(NEXT) | instid1(VALU_DEP_3)
	v_fma_f32 v40, -v28, v37, 1.0
	v_fma_f32 v22, -v22, v29, v35
	s_delay_alu instid0(VALU_DEP_3)
	v_fma_f32 v35, -v30, v38, v36
	v_mul_f32_e32 v26, v31, v26
	v_div_scale_f32 v31, s2, v21, v17, v21
	v_fmac_f32_e32 v37, v40, v37
	v_div_fmas_f32 v22, v22, v27, v29
	v_dual_fmac_f32 v38, v35, v34 :: v_dual_mul_f32 v27, v12, v12
	v_div_scale_f32 v24, null, v32, v32, v26
	v_mul_f32_e32 v12, v10, v12
	s_mov_b32 vcc_lo, s0
	s_delay_alu instid0(VALU_DEP_3) | instskip(SKIP_3) | instid1(VALU_DEP_3)
	v_fmac_f32_e32 v13, v9, v27
	v_div_scale_f32 v9, s1, v20, v25, v20
	v_fma_f32 v27, -v33, v39, 1.0
	v_rcp_f32_e32 v29, v24
	v_mul_f32_e32 v13, v19, v13
	v_fma_f32 v19, -v30, v38, v36
	s_delay_alu instid0(VALU_DEP_3) | instskip(SKIP_1) | instid1(VALU_DEP_4)
	v_dual_mul_f32 v30, v9, v37 :: v_dual_fmac_f32 v39, v27, v39
	v_fma_f32 v1, v1, v8, -v12
	v_div_scale_f32 v27, null, v25, v25, v13
	s_delay_alu instid0(VALU_DEP_4) | instskip(NEXT) | instid1(VALU_DEP_4)
	v_div_fmas_f32 v19, v19, v34, v38
	v_mul_f32_e32 v34, v31, v39
	s_delay_alu instid0(TRANS32_DEP_1) | instskip(NEXT) | instid1(VALU_DEP_4)
	v_fma_f32 v35, -v24, v29, 1.0
	v_rcp_f32_e32 v12, v27
	v_mul_f32_e32 v1, v16, v1
	v_fma_f32 v16, -v28, v30, v9
	v_div_scale_f32 v36, s0, v26, v32, v26
	s_mov_b32 vcc_lo, s1
	v_add_f32_e32 v8, v10, v8
	s_delay_alu instid0(VALU_DEP_3) | instskip(SKIP_1) | instid1(TRANS32_DEP_1)
	v_fmac_f32_e32 v30, v16, v37
	v_fma_f32 v16, -v33, v34, v31
	v_fma_f32 v38, -v27, v12, 1.0
	v_fmac_f32_e32 v29, v35, v29
	s_delay_alu instid0(VALU_DEP_4) | instskip(SKIP_1) | instid1(VALU_DEP_3)
	v_fma_f32 v9, -v28, v30, v9
	v_div_scale_f32 v35, null, v17, v17, v1
	v_dual_fmac_f32 v12, v38, v12 :: v_dual_mul_f32 v41, v36, v29
	v_div_scale_f32 v38, s3, v13, v25, v13
	s_delay_alu instid0(VALU_DEP_4) | instskip(NEXT) | instid1(VALU_DEP_4)
	v_div_fmas_f32 v9, v9, v37, v30
	v_rcp_f32_e32 v40, v35
	s_delay_alu instid0(VALU_DEP_3)
	v_fma_f32 v10, -v24, v41, v36
	v_fmac_f32_e32 v34, v16, v39
	v_mul_f32_e32 v16, v38, v12
	s_mov_b32 vcc_lo, s2
	v_div_fixup_f32 v9, v9, v25, v20
	v_fmac_f32_e32 v41, v10, v29
	v_fma_f32 v30, -v33, v34, v31
	v_fma_f32 v10, -v27, v16, v38
	s_delay_alu instid0(TRANS32_DEP_1) | instskip(NEXT) | instid1(VALU_DEP_4)
	v_fma_f32 v28, -v35, v40, 1.0
	v_fma_f32 v24, -v24, v41, v36
	s_delay_alu instid0(VALU_DEP_4) | instskip(NEXT) | instid1(VALU_DEP_4)
	v_div_fmas_f32 v30, v30, v39, v34
	v_fmac_f32_e32 v16, v10, v12
	s_mov_b32 vcc_lo, s0
	s_delay_alu instid0(VALU_DEP_3) | instskip(SKIP_1) | instid1(VALU_DEP_2)
	v_div_fmas_f32 v10, v24, v29, v41
	s_mov_b32 vcc_lo, s3
	v_fma_f32 v11, -v27, v16, v38
	s_delay_alu instid0(VALU_DEP_2) | instskip(NEXT) | instid1(VALU_DEP_2)
	v_div_fixup_f32 v10, v10, v32, v26
	v_div_fmas_f32 v11, v11, v12, v16
	v_div_fixup_f32 v12, v19, v17, v23
	s_delay_alu instid0(VALU_DEP_3) | instskip(NEXT) | instid1(VALU_DEP_3)
	v_add_f32_e32 v7, v7, v10
	v_div_fixup_f32 v10, v11, v25, v13
	v_fmac_f32_e32 v40, v28, v40
	v_div_scale_f32 v28, s1, v1, v17, v1
	s_delay_alu instid0(VALU_DEP_1) | instskip(NEXT) | instid1(VALU_DEP_3)
	s_mov_b32 vcc_lo, s1
	v_dual_add_f32 v7, v10, v7 :: v_dual_add_f32 v8, v8, v9
	s_delay_alu instid0(VALU_DEP_2) | instskip(SKIP_3) | instid1(VALU_DEP_4)
	v_mul_f32_e32 v31, v28, v40
	v_div_fixup_f32 v11, v30, v17, v21
	v_div_fixup_f32 v13, v22, v17, v18
	v_add_f32_e32 v12, v14, v12
	v_fma_f32 v24, -v35, v31, v28
	s_delay_alu instid0(VALU_DEP_4) | instskip(NEXT) | instid1(VALU_DEP_4)
	v_add_f32_e32 v10, v11, v8
	v_add_f32_e32 v4, v4, v13
	s_delay_alu instid0(VALU_DEP_3) | instskip(NEXT) | instid1(VALU_DEP_1)
	v_fmac_f32_e32 v31, v24, v40
	v_fma_f32 v9, -v35, v31, v28
	s_delay_alu instid0(VALU_DEP_1) | instskip(SKIP_1) | instid1(VALU_DEP_2)
	v_div_fmas_f32 v9, v9, v40, v31
	v_cmp_lt_f32_e32 vcc_lo, v3, v6
	v_div_fixup_f32 v1, v9, v17, v1
	v_cndmask_b32_e32 v3, v3, v6, vcc_lo
	s_delay_alu instid0(VALU_DEP_2)
	v_add_f32_e32 v11, v1, v7
	v_mov_b32_e32 v1, v17
	v_mov_b32_e32 v9, v12
.LBB7_17:
	s_or_b32 exec_lo, exec_lo, s5
	v_cmp_gt_u32_e32 vcc_lo, 28, v15
	v_add_nc_u32_e32 v17, 4, v15
	s_mov_b32 s5, exec_lo
	s_waitcnt lgkmcnt(4)
	v_cndmask_b32_e64 v6, 0, 1, vcc_lo
	s_delay_alu instid0(VALU_DEP_1) | instskip(SKIP_1) | instid1(VALU_DEP_1)
	v_lshlrev_b32_e32 v6, 2, v6
	s_waitcnt lgkmcnt(0)
	v_add_lshl_u32 v7, v6, v15, 2
	ds_bpermute_b32 v12, v7, v1
	ds_bpermute_b32 v14, v7, v2
	;; [unrolled: 1-line block ×7, first 2 shown]
	v_cmpx_lt_u32_e64 v17, v5
	s_cbranch_execz .LBB7_19
; %bb.18:
	s_waitcnt lgkmcnt(3)
	v_sub_f32_e32 v16, v16, v4
	v_cmp_gt_f32_e32 vcc_lo, v2, v14
	v_add_f32_e32 v17, v1, v12
	s_waitcnt lgkmcnt(0)
	v_add_f32_e32 v7, v11, v7
	v_dual_mul_f32 v19, v16, v16 :: v_dual_cndmask_b32 v2, v2, v14
	v_add_f32_e32 v14, v9, v13
	v_mul_f32_e32 v25, v17, v17
	s_delay_alu instid0(VALU_DEP_3) | instskip(SKIP_1) | instid1(VALU_DEP_2)
	v_dual_mul_f32 v23, v1, v19 :: v_dual_mul_f32 v18, v16, v12
	v_dual_mul_f32 v21, v9, v12 :: v_dual_mul_f32 v26, v16, v19
	;; [unrolled: 1-line block ×3, first 2 shown]
	s_delay_alu instid0(VALU_DEP_3) | instskip(NEXT) | instid1(VALU_DEP_3)
	v_div_scale_f32 v22, null, v17, v17, v18
	v_dual_mul_f32 v28, 0x40400000, v16 :: v_dual_mul_f32 v29, v1, v26
	s_delay_alu instid0(VALU_DEP_3) | instskip(NEXT) | instid1(VALU_DEP_3)
	v_div_scale_f32 v30, null, v17, v17, v23
	v_rcp_f32_e32 v27, v22
	v_fma_f32 v21, v1, v13, -v21
	v_sub_f32_e32 v20, v1, v12
	v_dual_mul_f32 v29, v29, v12 :: v_dual_mul_f32 v26, v16, v26
	v_rcp_f32_e32 v34, v30
	v_div_scale_f32 v35, vcc_lo, v18, v17, v18
	v_mul_f32_e32 v21, v28, v21
	v_div_scale_f32 v36, s0, v23, v17, v23
	s_delay_alu instid0(TRANS32_DEP_2) | instskip(SKIP_3) | instid1(VALU_DEP_4)
	v_fma_f32 v33, -v22, v27, 1.0
	v_mul_f32_e32 v20, v20, v29
	v_fma_f32 v31, -v1, v12, v24
	v_dual_mul_f32 v26, v1, v26 :: v_dual_mul_f32 v19, 0x40c00000, v19
	v_fmac_f32_e32 v27, v33, v27
	v_mul_f32_e32 v32, v17, v25
	v_fma_f32 v33, -v30, v34, 1.0
	v_div_scale_f32 v28, null, v25, v25, v20
	s_delay_alu instid0(VALU_DEP_4) | instskip(SKIP_2) | instid1(VALU_DEP_4)
	v_mul_f32_e32 v29, v35, v27
	v_fmac_f32_e32 v31, v12, v12
	v_dual_mul_f32 v26, v26, v12 :: v_dual_mul_f32 v13, v24, v13
	v_rcp_f32_e32 v37, v28
	s_delay_alu instid0(VALU_DEP_3) | instskip(SKIP_2) | instid1(VALU_DEP_3)
	v_fma_f32 v38, -v22, v29, v35
	v_fmac_f32_e32 v34, v33, v34
	v_div_scale_f32 v33, null, v17, v17, v21
	v_dual_mul_f32 v16, 4.0, v16 :: v_dual_fmac_f32 v29, v38, v27
	s_delay_alu instid0(VALU_DEP_3) | instskip(NEXT) | instid1(VALU_DEP_3)
	v_mul_f32_e32 v38, v36, v34
	v_rcp_f32_e32 v39, v33
	s_delay_alu instid0(TRANS32_DEP_2) | instskip(NEXT) | instid1(VALU_DEP_3)
	v_fma_f32 v40, -v28, v37, 1.0
	v_fma_f32 v22, -v22, v29, v35
	s_delay_alu instid0(VALU_DEP_3)
	v_fma_f32 v35, -v30, v38, v36
	v_mul_f32_e32 v26, v31, v26
	v_div_scale_f32 v31, s2, v21, v17, v21
	v_fmac_f32_e32 v37, v40, v37
	v_div_fmas_f32 v22, v22, v27, v29
	v_dual_fmac_f32 v38, v35, v34 :: v_dual_mul_f32 v27, v12, v12
	v_div_scale_f32 v24, null, v32, v32, v26
	v_mul_f32_e32 v12, v10, v12
	s_mov_b32 vcc_lo, s0
	s_delay_alu instid0(VALU_DEP_3) | instskip(SKIP_3) | instid1(VALU_DEP_3)
	v_fmac_f32_e32 v13, v9, v27
	v_div_scale_f32 v9, s1, v20, v25, v20
	v_fma_f32 v27, -v33, v39, 1.0
	v_rcp_f32_e32 v29, v24
	v_mul_f32_e32 v13, v19, v13
	v_fma_f32 v19, -v30, v38, v36
	s_delay_alu instid0(VALU_DEP_3) | instskip(SKIP_1) | instid1(VALU_DEP_4)
	v_dual_mul_f32 v30, v9, v37 :: v_dual_fmac_f32 v39, v27, v39
	v_fma_f32 v1, v1, v8, -v12
	v_div_scale_f32 v27, null, v25, v25, v13
	s_delay_alu instid0(VALU_DEP_4) | instskip(NEXT) | instid1(VALU_DEP_4)
	v_div_fmas_f32 v19, v19, v34, v38
	v_mul_f32_e32 v34, v31, v39
	s_delay_alu instid0(TRANS32_DEP_1) | instskip(NEXT) | instid1(VALU_DEP_4)
	v_fma_f32 v35, -v24, v29, 1.0
	v_rcp_f32_e32 v12, v27
	v_mul_f32_e32 v1, v16, v1
	v_fma_f32 v16, -v28, v30, v9
	v_div_scale_f32 v36, s0, v26, v32, v26
	s_mov_b32 vcc_lo, s1
	v_add_f32_e32 v8, v10, v8
	s_delay_alu instid0(VALU_DEP_3) | instskip(SKIP_1) | instid1(TRANS32_DEP_1)
	v_fmac_f32_e32 v30, v16, v37
	v_fma_f32 v16, -v33, v34, v31
	v_fma_f32 v38, -v27, v12, 1.0
	v_fmac_f32_e32 v29, v35, v29
	s_delay_alu instid0(VALU_DEP_4) | instskip(SKIP_1) | instid1(VALU_DEP_3)
	v_fma_f32 v9, -v28, v30, v9
	v_div_scale_f32 v35, null, v17, v17, v1
	v_dual_fmac_f32 v12, v38, v12 :: v_dual_mul_f32 v41, v36, v29
	v_div_scale_f32 v38, s3, v13, v25, v13
	s_delay_alu instid0(VALU_DEP_4) | instskip(NEXT) | instid1(VALU_DEP_4)
	v_div_fmas_f32 v9, v9, v37, v30
	v_rcp_f32_e32 v40, v35
	s_delay_alu instid0(VALU_DEP_3)
	v_fma_f32 v10, -v24, v41, v36
	v_fmac_f32_e32 v34, v16, v39
	v_mul_f32_e32 v16, v38, v12
	s_mov_b32 vcc_lo, s2
	v_div_fixup_f32 v9, v9, v25, v20
	v_fmac_f32_e32 v41, v10, v29
	v_fma_f32 v30, -v33, v34, v31
	v_fma_f32 v10, -v27, v16, v38
	s_delay_alu instid0(TRANS32_DEP_1) | instskip(NEXT) | instid1(VALU_DEP_4)
	v_fma_f32 v28, -v35, v40, 1.0
	v_fma_f32 v24, -v24, v41, v36
	s_delay_alu instid0(VALU_DEP_4) | instskip(NEXT) | instid1(VALU_DEP_4)
	v_div_fmas_f32 v30, v30, v39, v34
	v_fmac_f32_e32 v16, v10, v12
	s_mov_b32 vcc_lo, s0
	s_delay_alu instid0(VALU_DEP_3) | instskip(SKIP_1) | instid1(VALU_DEP_2)
	v_div_fmas_f32 v10, v24, v29, v41
	s_mov_b32 vcc_lo, s3
	v_fma_f32 v11, -v27, v16, v38
	s_delay_alu instid0(VALU_DEP_2) | instskip(NEXT) | instid1(VALU_DEP_2)
	v_div_fixup_f32 v10, v10, v32, v26
	v_div_fmas_f32 v11, v11, v12, v16
	v_div_fixup_f32 v12, v19, v17, v23
	s_delay_alu instid0(VALU_DEP_3) | instskip(NEXT) | instid1(VALU_DEP_3)
	v_add_f32_e32 v7, v7, v10
	v_div_fixup_f32 v10, v11, v25, v13
	v_fmac_f32_e32 v40, v28, v40
	v_div_scale_f32 v28, s1, v1, v17, v1
	s_delay_alu instid0(VALU_DEP_1) | instskip(NEXT) | instid1(VALU_DEP_3)
	s_mov_b32 vcc_lo, s1
	v_dual_add_f32 v7, v10, v7 :: v_dual_add_f32 v8, v8, v9
	s_delay_alu instid0(VALU_DEP_2) | instskip(SKIP_3) | instid1(VALU_DEP_4)
	v_mul_f32_e32 v31, v28, v40
	v_div_fixup_f32 v11, v30, v17, v21
	v_div_fixup_f32 v13, v22, v17, v18
	v_add_f32_e32 v12, v14, v12
	v_fma_f32 v24, -v35, v31, v28
	s_delay_alu instid0(VALU_DEP_4) | instskip(NEXT) | instid1(VALU_DEP_4)
	v_add_f32_e32 v10, v11, v8
	v_add_f32_e32 v4, v4, v13
	s_delay_alu instid0(VALU_DEP_3) | instskip(NEXT) | instid1(VALU_DEP_1)
	v_fmac_f32_e32 v31, v24, v40
	v_fma_f32 v9, -v35, v31, v28
	s_delay_alu instid0(VALU_DEP_1) | instskip(SKIP_1) | instid1(VALU_DEP_2)
	v_div_fmas_f32 v9, v9, v40, v31
	v_cmp_lt_f32_e32 vcc_lo, v3, v6
	v_div_fixup_f32 v1, v9, v17, v1
	v_cndmask_b32_e32 v3, v3, v6, vcc_lo
	s_delay_alu instid0(VALU_DEP_2)
	v_add_f32_e32 v11, v1, v7
	v_mov_b32_e32 v1, v17
	v_mov_b32_e32 v9, v12
.LBB7_19:
	s_or_b32 exec_lo, exec_lo, s5
	v_cmp_gt_u32_e32 vcc_lo, 24, v15
	v_add_nc_u32_e32 v17, 8, v15
	s_mov_b32 s5, exec_lo
	s_waitcnt lgkmcnt(4)
	v_cndmask_b32_e64 v6, 0, 1, vcc_lo
	s_delay_alu instid0(VALU_DEP_1) | instskip(SKIP_1) | instid1(VALU_DEP_1)
	v_lshlrev_b32_e32 v6, 3, v6
	s_waitcnt lgkmcnt(0)
	v_add_lshl_u32 v7, v6, v15, 2
	ds_bpermute_b32 v12, v7, v1
	ds_bpermute_b32 v14, v7, v2
	;; [unrolled: 1-line block ×7, first 2 shown]
	v_cmpx_lt_u32_e64 v17, v5
	s_cbranch_execz .LBB7_21
; %bb.20:
	s_waitcnt lgkmcnt(3)
	v_sub_f32_e32 v16, v16, v4
	v_cmp_gt_f32_e32 vcc_lo, v2, v14
	v_add_f32_e32 v17, v1, v12
	s_waitcnt lgkmcnt(0)
	v_add_f32_e32 v7, v11, v7
	v_dual_mul_f32 v19, v16, v16 :: v_dual_cndmask_b32 v2, v2, v14
	v_add_f32_e32 v14, v9, v13
	v_mul_f32_e32 v25, v17, v17
	s_delay_alu instid0(VALU_DEP_3) | instskip(SKIP_1) | instid1(VALU_DEP_2)
	v_dual_mul_f32 v23, v1, v19 :: v_dual_mul_f32 v18, v16, v12
	v_dual_mul_f32 v21, v9, v12 :: v_dual_mul_f32 v26, v16, v19
	;; [unrolled: 1-line block ×3, first 2 shown]
	s_delay_alu instid0(VALU_DEP_3) | instskip(NEXT) | instid1(VALU_DEP_3)
	v_div_scale_f32 v22, null, v17, v17, v18
	v_dual_mul_f32 v28, 0x40400000, v16 :: v_dual_mul_f32 v29, v1, v26
	s_delay_alu instid0(VALU_DEP_3) | instskip(NEXT) | instid1(VALU_DEP_3)
	v_div_scale_f32 v30, null, v17, v17, v23
	v_rcp_f32_e32 v27, v22
	v_fma_f32 v21, v1, v13, -v21
	v_sub_f32_e32 v20, v1, v12
	v_dual_mul_f32 v29, v29, v12 :: v_dual_mul_f32 v26, v16, v26
	v_rcp_f32_e32 v34, v30
	v_div_scale_f32 v35, vcc_lo, v18, v17, v18
	v_mul_f32_e32 v21, v28, v21
	v_div_scale_f32 v36, s0, v23, v17, v23
	s_delay_alu instid0(TRANS32_DEP_2) | instskip(SKIP_3) | instid1(VALU_DEP_4)
	v_fma_f32 v33, -v22, v27, 1.0
	v_mul_f32_e32 v20, v20, v29
	v_fma_f32 v31, -v1, v12, v24
	v_dual_mul_f32 v26, v1, v26 :: v_dual_mul_f32 v19, 0x40c00000, v19
	v_fmac_f32_e32 v27, v33, v27
	v_mul_f32_e32 v32, v17, v25
	v_fma_f32 v33, -v30, v34, 1.0
	v_div_scale_f32 v28, null, v25, v25, v20
	s_delay_alu instid0(VALU_DEP_4) | instskip(SKIP_2) | instid1(VALU_DEP_4)
	v_mul_f32_e32 v29, v35, v27
	v_fmac_f32_e32 v31, v12, v12
	v_dual_mul_f32 v26, v26, v12 :: v_dual_mul_f32 v13, v24, v13
	v_rcp_f32_e32 v37, v28
	s_delay_alu instid0(VALU_DEP_3) | instskip(SKIP_2) | instid1(VALU_DEP_3)
	v_fma_f32 v38, -v22, v29, v35
	v_fmac_f32_e32 v34, v33, v34
	v_div_scale_f32 v33, null, v17, v17, v21
	v_dual_mul_f32 v16, 4.0, v16 :: v_dual_fmac_f32 v29, v38, v27
	s_delay_alu instid0(VALU_DEP_3) | instskip(NEXT) | instid1(VALU_DEP_3)
	v_mul_f32_e32 v38, v36, v34
	v_rcp_f32_e32 v39, v33
	s_delay_alu instid0(TRANS32_DEP_2) | instskip(NEXT) | instid1(VALU_DEP_3)
	v_fma_f32 v40, -v28, v37, 1.0
	v_fma_f32 v22, -v22, v29, v35
	s_delay_alu instid0(VALU_DEP_3)
	v_fma_f32 v35, -v30, v38, v36
	v_mul_f32_e32 v26, v31, v26
	v_div_scale_f32 v31, s2, v21, v17, v21
	v_fmac_f32_e32 v37, v40, v37
	v_div_fmas_f32 v22, v22, v27, v29
	v_dual_fmac_f32 v38, v35, v34 :: v_dual_mul_f32 v27, v12, v12
	v_div_scale_f32 v24, null, v32, v32, v26
	v_mul_f32_e32 v12, v10, v12
	s_mov_b32 vcc_lo, s0
	s_delay_alu instid0(VALU_DEP_3) | instskip(SKIP_3) | instid1(VALU_DEP_3)
	v_fmac_f32_e32 v13, v9, v27
	v_div_scale_f32 v9, s1, v20, v25, v20
	v_fma_f32 v27, -v33, v39, 1.0
	v_rcp_f32_e32 v29, v24
	v_mul_f32_e32 v13, v19, v13
	v_fma_f32 v19, -v30, v38, v36
	s_delay_alu instid0(VALU_DEP_3) | instskip(SKIP_1) | instid1(VALU_DEP_4)
	v_dual_mul_f32 v30, v9, v37 :: v_dual_fmac_f32 v39, v27, v39
	v_fma_f32 v1, v1, v8, -v12
	v_div_scale_f32 v27, null, v25, v25, v13
	s_delay_alu instid0(VALU_DEP_4) | instskip(NEXT) | instid1(VALU_DEP_4)
	v_div_fmas_f32 v19, v19, v34, v38
	v_mul_f32_e32 v34, v31, v39
	s_delay_alu instid0(TRANS32_DEP_1) | instskip(NEXT) | instid1(VALU_DEP_4)
	v_fma_f32 v35, -v24, v29, 1.0
	v_rcp_f32_e32 v12, v27
	v_mul_f32_e32 v1, v16, v1
	v_fma_f32 v16, -v28, v30, v9
	v_div_scale_f32 v36, s0, v26, v32, v26
	s_mov_b32 vcc_lo, s1
	v_add_f32_e32 v8, v10, v8
	s_delay_alu instid0(VALU_DEP_3) | instskip(SKIP_1) | instid1(TRANS32_DEP_1)
	v_fmac_f32_e32 v30, v16, v37
	v_fma_f32 v16, -v33, v34, v31
	v_fma_f32 v38, -v27, v12, 1.0
	v_fmac_f32_e32 v29, v35, v29
	s_delay_alu instid0(VALU_DEP_4) | instskip(SKIP_1) | instid1(VALU_DEP_3)
	v_fma_f32 v9, -v28, v30, v9
	v_div_scale_f32 v35, null, v17, v17, v1
	v_dual_fmac_f32 v12, v38, v12 :: v_dual_mul_f32 v41, v36, v29
	v_div_scale_f32 v38, s3, v13, v25, v13
	s_delay_alu instid0(VALU_DEP_4) | instskip(NEXT) | instid1(VALU_DEP_4)
	v_div_fmas_f32 v9, v9, v37, v30
	v_rcp_f32_e32 v40, v35
	s_delay_alu instid0(VALU_DEP_3)
	v_fma_f32 v10, -v24, v41, v36
	v_fmac_f32_e32 v34, v16, v39
	v_mul_f32_e32 v16, v38, v12
	s_mov_b32 vcc_lo, s2
	v_div_fixup_f32 v9, v9, v25, v20
	v_fmac_f32_e32 v41, v10, v29
	v_fma_f32 v30, -v33, v34, v31
	v_fma_f32 v10, -v27, v16, v38
	s_delay_alu instid0(TRANS32_DEP_1) | instskip(NEXT) | instid1(VALU_DEP_4)
	v_fma_f32 v28, -v35, v40, 1.0
	v_fma_f32 v24, -v24, v41, v36
	s_delay_alu instid0(VALU_DEP_4) | instskip(NEXT) | instid1(VALU_DEP_4)
	v_div_fmas_f32 v30, v30, v39, v34
	v_fmac_f32_e32 v16, v10, v12
	s_mov_b32 vcc_lo, s0
	s_delay_alu instid0(VALU_DEP_3) | instskip(SKIP_1) | instid1(VALU_DEP_2)
	v_div_fmas_f32 v10, v24, v29, v41
	s_mov_b32 vcc_lo, s3
	v_fma_f32 v11, -v27, v16, v38
	s_delay_alu instid0(VALU_DEP_2) | instskip(NEXT) | instid1(VALU_DEP_2)
	v_div_fixup_f32 v10, v10, v32, v26
	v_div_fmas_f32 v11, v11, v12, v16
	v_div_fixup_f32 v12, v19, v17, v23
	s_delay_alu instid0(VALU_DEP_3) | instskip(NEXT) | instid1(VALU_DEP_3)
	v_add_f32_e32 v7, v7, v10
	v_div_fixup_f32 v10, v11, v25, v13
	v_fmac_f32_e32 v40, v28, v40
	v_div_scale_f32 v28, s1, v1, v17, v1
	s_delay_alu instid0(VALU_DEP_1) | instskip(NEXT) | instid1(VALU_DEP_3)
	s_mov_b32 vcc_lo, s1
	v_dual_add_f32 v7, v10, v7 :: v_dual_add_f32 v8, v8, v9
	s_delay_alu instid0(VALU_DEP_2) | instskip(SKIP_3) | instid1(VALU_DEP_4)
	v_mul_f32_e32 v31, v28, v40
	v_div_fixup_f32 v11, v30, v17, v21
	v_div_fixup_f32 v13, v22, v17, v18
	v_add_f32_e32 v12, v14, v12
	v_fma_f32 v24, -v35, v31, v28
	s_delay_alu instid0(VALU_DEP_4) | instskip(NEXT) | instid1(VALU_DEP_4)
	v_add_f32_e32 v10, v11, v8
	v_add_f32_e32 v4, v4, v13
	s_delay_alu instid0(VALU_DEP_3) | instskip(NEXT) | instid1(VALU_DEP_1)
	v_fmac_f32_e32 v31, v24, v40
	v_fma_f32 v9, -v35, v31, v28
	s_delay_alu instid0(VALU_DEP_1) | instskip(SKIP_1) | instid1(VALU_DEP_2)
	v_div_fmas_f32 v9, v9, v40, v31
	v_cmp_lt_f32_e32 vcc_lo, v3, v6
	v_div_fixup_f32 v1, v9, v17, v1
	v_cndmask_b32_e32 v3, v3, v6, vcc_lo
	s_delay_alu instid0(VALU_DEP_2)
	v_add_f32_e32 v11, v1, v7
	v_mov_b32_e32 v1, v17
	v_mov_b32_e32 v9, v12
.LBB7_21:
	s_or_b32 exec_lo, exec_lo, s5
	v_cmp_gt_u32_e32 vcc_lo, 16, v15
	v_add_nc_u32_e32 v17, 16, v15
	s_mov_b32 s5, exec_lo
	s_waitcnt lgkmcnt(4)
	v_cndmask_b32_e64 v6, 0, 1, vcc_lo
	s_delay_alu instid0(VALU_DEP_1) | instskip(SKIP_1) | instid1(VALU_DEP_1)
	v_lshlrev_b32_e32 v6, 4, v6
	s_waitcnt lgkmcnt(0)
	v_add_lshl_u32 v7, v6, v15, 2
	ds_bpermute_b32 v12, v7, v1
	ds_bpermute_b32 v14, v7, v2
	;; [unrolled: 1-line block ×7, first 2 shown]
	v_cmpx_lt_u32_e64 v17, v5
	s_cbranch_execz .LBB7_23
; %bb.22:
	s_waitcnt lgkmcnt(5)
	v_cmp_gt_f32_e32 vcc_lo, v2, v14
	s_waitcnt lgkmcnt(3)
	v_sub_f32_e32 v5, v16, v4
	s_waitcnt lgkmcnt(0)
	v_dual_add_f32 v7, v11, v7 :: v_dual_cndmask_b32 v2, v2, v14
	s_delay_alu instid0(VALU_DEP_2) | instskip(SKIP_1) | instid1(VALU_DEP_2)
	v_dual_add_f32 v16, v1, v12 :: v_dual_mul_f32 v27, 0x40400000, v5
	v_mul_f32_e32 v17, v5, v12
	v_dual_mul_f32 v23, v1, v1 :: v_dual_mul_f32 v24, v16, v16
	v_add_f32_e32 v14, v9, v13
	s_delay_alu instid0(VALU_DEP_3) | instskip(NEXT) | instid1(VALU_DEP_3)
	v_div_scale_f32 v21, null, v16, v16, v17
	v_fma_f32 v30, -v1, v12, v23
	s_delay_alu instid0(VALU_DEP_4) | instskip(NEXT) | instid1(VALU_DEP_3)
	v_mul_f32_e32 v31, v16, v24
	v_rcp_f32_e32 v26, v21
	s_delay_alu instid0(VALU_DEP_2) | instskip(SKIP_2) | instid1(VALU_DEP_1)
	v_fmac_f32_e32 v30, v12, v12
	s_waitcnt_depctr 0xfff
	v_fma_f32 v32, -v21, v26, 1.0
	v_fmac_f32_e32 v26, v32, v26
	v_div_scale_f32 v34, vcc_lo, v17, v16, v17
	v_sub_f32_e32 v19, v1, v12
	v_mul_f32_e32 v18, v5, v5
	s_delay_alu instid0(VALU_DEP_1) | instskip(NEXT) | instid1(VALU_DEP_1)
	v_mul_f32_e32 v25, v5, v18
	v_mul_f32_e32 v28, v1, v25
	s_delay_alu instid0(VALU_DEP_1) | instskip(NEXT) | instid1(VALU_DEP_1)
	v_mul_f32_e32 v28, v28, v12
	v_dual_mul_f32 v19, v19, v28 :: v_dual_mul_f32 v22, v1, v18
	v_mul_f32_e32 v28, v34, v26
	v_mul_f32_e32 v18, 0x40c00000, v18
	s_delay_alu instid0(VALU_DEP_3) | instskip(NEXT) | instid1(VALU_DEP_3)
	v_dual_mul_f32 v22, v22, v12 :: v_dual_mul_f32 v25, v5, v25
	v_fma_f32 v37, -v21, v28, v34
	v_mul_f32_e32 v5, 4.0, v5
	s_delay_alu instid0(VALU_DEP_3) | instskip(SKIP_2) | instid1(VALU_DEP_3)
	v_div_scale_f32 v29, null, v16, v16, v22
	v_div_scale_f32 v35, s0, v22, v16, v22
	v_mul_f32_e32 v25, v1, v25
	v_rcp_f32_e32 v33, v29
	s_delay_alu instid0(VALU_DEP_1) | instskip(SKIP_2) | instid1(VALU_DEP_1)
	v_mul_f32_e32 v25, v25, v12
	s_waitcnt_depctr 0xfff
	v_fma_f32 v32, -v29, v33, 1.0
	v_dual_mul_f32 v20, v9, v12 :: v_dual_fmac_f32 v33, v32, v33
	s_delay_alu instid0(VALU_DEP_1) | instskip(SKIP_2) | instid1(VALU_DEP_4)
	v_fma_f32 v20, v1, v13, -v20
	v_dual_fmac_f32 v28, v37, v26 :: v_dual_mul_f32 v13, v23, v13
	v_mul_f32_e32 v25, v30, v25
	v_mul_f32_e32 v37, v35, v33
	s_delay_alu instid0(VALU_DEP_4) | instskip(SKIP_2) | instid1(VALU_DEP_4)
	v_mul_f32_e32 v20, v27, v20
	v_div_scale_f32 v27, null, v24, v24, v19
	v_fma_f32 v21, -v21, v28, v34
	v_fma_f32 v34, -v29, v37, v35
	s_delay_alu instid0(VALU_DEP_4) | instskip(NEXT) | instid1(VALU_DEP_4)
	v_div_scale_f32 v32, null, v16, v16, v20
	v_rcp_f32_e32 v36, v27
	v_div_scale_f32 v30, s2, v20, v16, v20
	s_delay_alu instid0(VALU_DEP_3)
	v_fmac_f32_e32 v37, v34, v33
	v_div_fmas_f32 v21, v21, v26, v28
	v_mul_f32_e32 v26, v12, v12
	v_div_scale_f32 v23, null, v31, v31, v25
	v_rcp_f32_e32 v38, v32
	v_mul_f32_e32 v12, v10, v12
	s_delay_alu instid0(TRANS32_DEP_2) | instskip(NEXT) | instid1(VALU_DEP_3)
	v_fma_f32 v39, -v27, v36, 1.0
	v_rcp_f32_e32 v28, v23
	v_fmac_f32_e32 v13, v9, v26
	v_div_scale_f32 v9, s1, v19, v24, v19
	s_delay_alu instid0(VALU_DEP_3) | instskip(SKIP_2) | instid1(TRANS32_DEP_2)
	v_fmac_f32_e32 v36, v39, v36
	v_fma_f32 v1, v1, v8, -v12
	s_mov_b32 vcc_lo, s0
	v_fma_f32 v26, -v32, v38, 1.0
	s_waitcnt_depctr 0xfff
	v_fma_f32 v34, -v23, v28, 1.0
	v_dual_mul_f32 v1, v5, v1 :: v_dual_fmac_f32 v38, v26, v38
	s_delay_alu instid0(VALU_DEP_2)
	v_fmac_f32_e32 v28, v34, v28
	v_mul_f32_e32 v13, v18, v13
	v_fma_f32 v18, -v29, v37, v35
	v_div_scale_f32 v35, s0, v25, v31, v25
	v_mul_f32_e32 v29, v9, v36
	v_div_scale_f32 v34, null, v16, v16, v1
	s_delay_alu instid0(VALU_DEP_3) | instskip(SKIP_1) | instid1(VALU_DEP_4)
	v_mul_f32_e32 v40, v35, v28
	v_div_scale_f32 v26, null, v24, v24, v13
	v_fma_f32 v5, -v27, v29, v9
	s_delay_alu instid0(VALU_DEP_4) | instskip(SKIP_1) | instid1(VALU_DEP_3)
	v_rcp_f32_e32 v39, v34
	v_div_fmas_f32 v18, v18, v33, v37
	v_rcp_f32_e32 v12, v26
	v_mul_f32_e32 v33, v30, v38
	v_fmac_f32_e32 v29, v5, v36
	s_mov_b32 vcc_lo, s1
	s_delay_alu instid0(VALU_DEP_2) | instskip(NEXT) | instid1(VALU_DEP_2)
	v_fma_f32 v5, -v32, v33, v30
	v_fma_f32 v9, -v27, v29, v9
	s_delay_alu instid0(TRANS32_DEP_2) | instskip(SKIP_1) | instid1(TRANS32_DEP_1)
	v_fma_f32 v27, -v34, v39, 1.0
	v_add_f32_e32 v8, v10, v8
	v_fma_f32 v37, -v26, v12, 1.0
	v_fmac_f32_e32 v33, v5, v38
	v_fma_f32 v5, -v23, v40, v35
	v_fmac_f32_e32 v39, v27, v39
	v_div_fmas_f32 v9, v9, v36, v29
	v_fmac_f32_e32 v12, v37, v12
	v_div_scale_f32 v37, s3, v13, v24, v13
	v_fmac_f32_e32 v40, v5, v28
	v_fma_f32 v29, -v32, v33, v30
	s_mov_b32 vcc_lo, s2
	s_delay_alu instid0(VALU_DEP_3) | instskip(SKIP_3) | instid1(VALU_DEP_4)
	v_mul_f32_e32 v10, v37, v12
	v_div_scale_f32 v27, s1, v1, v16, v1
	v_fma_f32 v23, -v23, v40, v35
	v_div_fmas_f32 v29, v29, v38, v33
	v_fma_f32 v5, -v26, v10, v37
	s_mov_b32 vcc_lo, s0
	v_mul_f32_e32 v30, v27, v39
	v_div_fixup_f32 v9, v9, v24, v19
	s_delay_alu instid0(VALU_DEP_3)
	v_fmac_f32_e32 v10, v5, v12
	v_div_fmas_f32 v5, v23, v28, v40
	s_mov_b32 vcc_lo, s3
	v_fma_f32 v23, -v34, v30, v27
	v_add_f32_e32 v8, v8, v9
	v_fma_f32 v11, -v26, v10, v37
	v_div_fixup_f32 v5, v5, v31, v25
	s_delay_alu instid0(VALU_DEP_2) | instskip(NEXT) | instid1(VALU_DEP_2)
	v_div_fmas_f32 v10, v11, v12, v10
	v_add_f32_e32 v5, v7, v5
	s_mov_b32 vcc_lo, s1
	v_div_fixup_f32 v11, v18, v16, v22
	v_div_fixup_f32 v12, v21, v16, v17
	;; [unrolled: 1-line block ×4, first 2 shown]
	s_delay_alu instid0(VALU_DEP_3) | instskip(NEXT) | instid1(VALU_DEP_3)
	v_dual_add_f32 v13, v14, v11 :: v_dual_add_f32 v4, v4, v12
	v_add_f32_e32 v5, v7, v5
	v_fmac_f32_e32 v30, v23, v39
	s_delay_alu instid0(VALU_DEP_1) | instskip(NEXT) | instid1(VALU_DEP_1)
	v_fma_f32 v9, -v34, v30, v27
	v_div_fmas_f32 v9, v9, v39, v30
	v_cmp_lt_f32_e32 vcc_lo, v3, v6
	s_delay_alu instid0(VALU_DEP_2) | instskip(SKIP_2) | instid1(VALU_DEP_3)
	v_div_fixup_f32 v1, v9, v16, v1
	v_dual_cndmask_b32 v3, v3, v6 :: v_dual_add_f32 v10, v10, v8
	v_mov_b32_e32 v9, v13
	v_add_f32_e32 v11, v1, v5
	v_mov_b32_e32 v1, v16
.LBB7_23:
	s_or_b32 exec_lo, exec_lo, s5
	s_delay_alu instid0(SALU_CYCLE_1)
	s_mov_b32 s0, exec_lo
	v_cmpx_eq_u32_e32 0, v15
	s_cbranch_execz .LBB7_25
; %bb.24:
	v_lshrrev_b32_e32 v5, 5, v0
	s_delay_alu instid0(VALU_DEP_1)
	v_mul_u32_u24_e32 v5, 28, v5
	ds_store_2addr_b32 v5, v1, v2 offset1:1
	ds_store_2addr_b32 v5, v3, v4 offset0:2 offset1:3
	ds_store_2addr_b32 v5, v9, v10 offset0:4 offset1:5
	ds_store_b32 v5, v11 offset:24
.LBB7_25:
	s_or_b32 exec_lo, exec_lo, s0
	s_delay_alu instid0(SALU_CYCLE_1)
	s_mov_b32 s5, exec_lo
	s_waitcnt lgkmcnt(0)
	s_barrier
	buffer_gl0_inv
	v_cmpx_gt_u32_e32 8, v0
	s_cbranch_execz .LBB7_33
; %bb.26:
	v_mul_u32_u24_e32 v6, 28, v15
	s_add_i32 s4, s4, 31
	ds_load_2addr_b32 v[1:2], v6 offset1:1
	ds_load_2addr_b32 v[3:4], v6 offset0:2 offset1:3
	ds_load_2addr_b32 v[9:10], v6 offset0:4 offset1:5
	ds_load_b32 v11, v6 offset:24
	v_and_b32_e32 v5, 7, v15
	s_lshr_b32 s4, s4, 5
	s_waitcnt lgkmcnt(1)
	v_mov_b32_e32 v16, v9
	s_delay_alu instid0(VALU_DEP_2) | instskip(SKIP_2) | instid1(VALU_DEP_1)
	v_cmp_ne_u32_e32 vcc_lo, 7, v5
	v_mov_b32_e32 v17, v10
	v_add_co_ci_u32_e32 v6, vcc_lo, 0, v15, vcc_lo
	v_lshlrev_b32_e32 v6, 2, v6
	ds_bpermute_b32 v13, v6, v1
	ds_bpermute_b32 v18, v6, v2
	;; [unrolled: 1-line block ×6, first 2 shown]
	s_waitcnt lgkmcnt(6)
	ds_bpermute_b32 v8, v6, v11
	v_add_nc_u32_e32 v6, 1, v5
	s_delay_alu instid0(VALU_DEP_1)
	v_cmp_gt_u32_e32 vcc_lo, s4, v6
	v_mov_b32_e32 v6, v1
	s_and_saveexec_b32 s6, vcc_lo
	s_cbranch_execz .LBB7_28
; %bb.27:
	s_waitcnt lgkmcnt(2)
	v_dual_sub_f32 v16, v19, v4 :: v_dual_add_f32 v17, v9, v14
	v_cmp_gt_f32_e32 vcc_lo, v2, v18
	v_add_f32_e32 v6, v1, v13
	v_mul_f32_e32 v21, v9, v13
	s_delay_alu instid0(VALU_DEP_4) | instskip(SKIP_1) | instid1(VALU_DEP_4)
	v_dual_mul_f32 v19, v16, v16 :: v_dual_sub_f32 v20, v1, v13
	v_cndmask_b32_e32 v2, v2, v18, vcc_lo
	v_dual_mul_f32 v18, v16, v13 :: v_dual_mul_f32 v25, v6, v6
	s_delay_alu instid0(VALU_DEP_3) | instskip(SKIP_2) | instid1(VALU_DEP_4)
	v_mul_f32_e32 v23, v1, v19
	v_mul_f32_e32 v26, v16, v19
	v_fma_f32 v21, v1, v14, -v21
	v_div_scale_f32 v22, null, v6, v6, v18
	s_delay_alu instid0(VALU_DEP_4) | instskip(NEXT) | instid1(VALU_DEP_4)
	v_dual_mul_f32 v23, v23, v13 :: v_dual_mul_f32 v28, 0x40400000, v16
	v_mul_f32_e32 v29, v1, v26
	s_delay_alu instid0(VALU_DEP_3) | instskip(SKIP_1) | instid1(VALU_DEP_3)
	v_rcp_f32_e32 v27, v22
	v_div_scale_f32 v35, vcc_lo, v18, v6, v18
	v_div_scale_f32 v30, null, v6, v6, v23
	s_delay_alu instid0(VALU_DEP_3) | instskip(SKIP_1) | instid1(VALU_DEP_3)
	v_dual_mul_f32 v29, v29, v13 :: v_dual_mul_f32 v26, v16, v26
	v_div_scale_f32 v36, s0, v23, v6, v23
	v_rcp_f32_e32 v34, v30
	s_waitcnt_depctr 0xfff
	v_fma_f32 v33, -v22, v27, 1.0
	v_dual_mul_f32 v32, v6, v25 :: v_dual_mul_f32 v19, 0x40c00000, v19
	s_delay_alu instid0(VALU_DEP_2) | instskip(SKIP_3) | instid1(VALU_DEP_4)
	v_fmac_f32_e32 v27, v33, v27
	v_mul_f32_e32 v24, v1, v1
	v_mul_f32_e32 v20, v20, v29
	v_fma_f32 v33, -v30, v34, 1.0
	v_mul_f32_e32 v29, v35, v27
	v_mul_f32_e32 v21, v28, v21
	v_fma_f32 v31, -v1, v13, v24
	s_delay_alu instid0(VALU_DEP_4) | instskip(NEXT) | instid1(VALU_DEP_4)
	v_fmac_f32_e32 v34, v33, v34
	v_fma_f32 v38, -v22, v29, v35
	s_delay_alu instid0(VALU_DEP_4) | instskip(NEXT) | instid1(VALU_DEP_4)
	v_div_scale_f32 v33, null, v6, v6, v21
	v_fmac_f32_e32 v31, v13, v13
	s_delay_alu instid0(VALU_DEP_3) | instskip(SKIP_3) | instid1(VALU_DEP_3)
	v_fmac_f32_e32 v29, v38, v27
	v_div_scale_f32 v28, null, v25, v25, v20
	v_mul_f32_e32 v38, v36, v34
	v_rcp_f32_e32 v39, v33
	v_fma_f32 v22, -v22, v29, v35
	s_delay_alu instid0(VALU_DEP_3) | instskip(SKIP_2) | instid1(VALU_DEP_3)
	v_rcp_f32_e32 v37, v28
	v_mul_f32_e32 v14, v24, v14
	v_fma_f32 v35, -v30, v38, v36
	v_div_fmas_f32 v22, v22, v27, v29
	v_mul_f32_e32 v27, v13, v13
	s_mov_b32 vcc_lo, s0
	s_delay_alu instid0(VALU_DEP_3) | instskip(SKIP_2) | instid1(VALU_DEP_1)
	v_fmac_f32_e32 v38, v35, v34
	s_waitcnt_depctr 0xfff
	v_fma_f32 v40, -v28, v37, 1.0
	v_dual_mul_f32 v26, v1, v26 :: v_dual_fmac_f32 v37, v40, v37
	s_delay_alu instid0(VALU_DEP_1) | instskip(NEXT) | instid1(VALU_DEP_1)
	v_mul_f32_e32 v26, v26, v13
	v_dual_mul_f32 v13, v10, v13 :: v_dual_mul_f32 v26, v31, v26
	s_waitcnt lgkmcnt(1)
	s_delay_alu instid0(VALU_DEP_1) | instskip(SKIP_1) | instid1(VALU_DEP_3)
	v_fma_f32 v1, v1, v12, -v13
	v_div_scale_f32 v31, s2, v21, v6, v21
	v_div_scale_f32 v24, null, v32, v32, v26
	s_delay_alu instid0(VALU_DEP_1) | instskip(SKIP_2) | instid1(VALU_DEP_1)
	v_rcp_f32_e32 v29, v24
	s_waitcnt_depctr 0xfff
	v_fma_f32 v35, -v24, v29, 1.0
	v_dual_mul_f32 v16, 4.0, v16 :: v_dual_fmac_f32 v29, v35, v29
	s_delay_alu instid0(VALU_DEP_1) | instskip(SKIP_2) | instid1(VALU_DEP_3)
	v_dual_fmac_f32 v14, v9, v27 :: v_dual_mul_f32 v1, v16, v1
	v_div_scale_f32 v9, s1, v20, v25, v20
	v_fma_f32 v27, -v33, v39, 1.0
	v_mul_f32_e32 v14, v19, v14
	v_fma_f32 v19, -v30, v38, v36
	v_div_scale_f32 v36, s0, v26, v32, v26
	s_delay_alu instid0(VALU_DEP_4) | instskip(SKIP_1) | instid1(VALU_DEP_3)
	v_dual_mul_f32 v30, v9, v37 :: v_dual_fmac_f32 v39, v27, v39
	v_div_scale_f32 v35, null, v6, v6, v1
	v_mul_f32_e32 v41, v36, v29
	v_div_scale_f32 v27, null, v25, v25, v14
	s_delay_alu instid0(VALU_DEP_4) | instskip(NEXT) | instid1(VALU_DEP_4)
	v_fma_f32 v16, -v28, v30, v9
	v_rcp_f32_e32 v40, v35
	v_div_fmas_f32 v19, v19, v34, v38
	s_delay_alu instid0(VALU_DEP_3) | instskip(SKIP_4) | instid1(VALU_DEP_3)
	v_rcp_f32_e32 v13, v27
	s_mov_b32 vcc_lo, s1
	v_fmac_f32_e32 v30, v16, v37
	v_add_f32_e32 v10, v10, v12
	v_fma_f32 v12, -v24, v41, v36
	v_fma_f32 v9, -v28, v30, v9
	s_delay_alu instid0(TRANS32_DEP_2) | instskip(NEXT) | instid1(VALU_DEP_3)
	v_fma_f32 v28, -v35, v40, 1.0
	v_fmac_f32_e32 v41, v12, v29
	s_delay_alu instid0(TRANS32_DEP_1)
	v_fma_f32 v38, -v27, v13, 1.0
	v_mul_f32_e32 v34, v31, v39
	v_div_fmas_f32 v9, v9, v37, v30
	v_fmac_f32_e32 v40, v28, v40
	v_div_scale_f32 v28, s1, v1, v6, v1
	v_fmac_f32_e32 v13, v38, v13
	v_fma_f32 v16, -v33, v34, v31
	v_div_scale_f32 v38, s3, v14, v25, v14
	v_div_fixup_f32 v9, v9, v25, v20
	v_fma_f32 v24, -v24, v41, v36
	s_delay_alu instid0(VALU_DEP_4) | instskip(SKIP_3) | instid1(VALU_DEP_2)
	v_fmac_f32_e32 v34, v16, v39
	s_mov_b32 vcc_lo, s2
	s_waitcnt lgkmcnt(0)
	v_dual_add_f32 v9, v10, v9 :: v_dual_add_f32 v8, v11, v8
	v_fma_f32 v30, -v33, v34, v31
	v_dual_mul_f32 v31, v28, v40 :: v_dual_mul_f32 v16, v38, v13
	s_delay_alu instid0(VALU_DEP_2) | instskip(SKIP_1) | instid1(VALU_DEP_2)
	v_div_fmas_f32 v30, v30, v39, v34
	s_mov_b32 vcc_lo, s0
	v_fma_f32 v12, -v27, v16, v38
	s_delay_alu instid0(VALU_DEP_1) | instskip(SKIP_3) | instid1(VALU_DEP_3)
	v_fmac_f32_e32 v16, v12, v13
	v_div_fmas_f32 v12, v24, v29, v41
	v_fma_f32 v24, -v35, v31, v28
	s_mov_b32 vcc_lo, s3
	v_fma_f32 v11, -v27, v16, v38
	s_delay_alu instid0(VALU_DEP_3) | instskip(NEXT) | instid1(VALU_DEP_3)
	v_div_fixup_f32 v12, v12, v32, v26
	v_fmac_f32_e32 v31, v24, v40
	s_delay_alu instid0(VALU_DEP_3) | instskip(SKIP_1) | instid1(VALU_DEP_2)
	v_div_fmas_f32 v11, v11, v13, v16
	s_mov_b32 vcc_lo, s1
	v_fma_f32 v10, -v35, v31, v28
	v_div_fixup_f32 v13, v19, v6, v23
	v_add_f32_e32 v8, v8, v12
	v_div_fixup_f32 v11, v11, v25, v14
	v_div_fixup_f32 v12, v30, v6, v21
	v_div_fmas_f32 v10, v10, v40, v31
	v_div_fixup_f32 v14, v22, v6, v18
	v_add_f32_e32 v16, v17, v13
	s_delay_alu instid0(VALU_DEP_4) | instskip(NEXT) | instid1(VALU_DEP_4)
	v_dual_add_f32 v8, v11, v8 :: v_dual_add_f32 v17, v12, v9
	v_div_fixup_f32 v1, v10, v6, v1
	v_cmp_lt_f32_e32 vcc_lo, v3, v7
	s_delay_alu instid0(VALU_DEP_4)
	v_mov_b32_e32 v9, v16
	v_add_f32_e32 v4, v4, v14
	v_mov_b32_e32 v10, v17
	v_add_f32_e32 v11, v1, v8
	v_cndmask_b32_e32 v3, v3, v7, vcc_lo
	v_mov_b32_e32 v1, v6
.LBB7_28:
	s_or_b32 exec_lo, exec_lo, s6
	v_cmp_gt_u32_e32 vcc_lo, 6, v5
	v_add_nc_u32_e32 v20, 2, v5
	s_mov_b32 s6, exec_lo
	s_waitcnt lgkmcnt(4)
	v_cndmask_b32_e64 v7, 0, 1, vcc_lo
	s_delay_alu instid0(VALU_DEP_1) | instskip(SKIP_1) | instid1(VALU_DEP_1)
	v_lshlrev_b32_e32 v7, 1, v7
	s_waitcnt lgkmcnt(0)
	v_add_lshl_u32 v8, v7, v15, 2
	ds_bpermute_b32 v13, v8, v6
	ds_bpermute_b32 v18, v8, v2
	;; [unrolled: 1-line block ×7, first 2 shown]
	v_cmpx_gt_u32_e64 s4, v20
	s_cbranch_execz .LBB7_30
; %bb.29:
	s_waitcnt lgkmcnt(2)
	v_dual_sub_f32 v16, v19, v4 :: v_dual_add_f32 v17, v9, v14
	v_cmp_gt_f32_e32 vcc_lo, v2, v18
	v_add_f32_e32 v6, v1, v13
	v_mul_f32_e32 v21, v9, v13
	s_delay_alu instid0(VALU_DEP_4) | instskip(SKIP_1) | instid1(VALU_DEP_4)
	v_dual_mul_f32 v19, v16, v16 :: v_dual_sub_f32 v20, v1, v13
	v_cndmask_b32_e32 v2, v2, v18, vcc_lo
	v_dual_mul_f32 v18, v16, v13 :: v_dual_mul_f32 v25, v6, v6
	s_delay_alu instid0(VALU_DEP_3) | instskip(SKIP_2) | instid1(VALU_DEP_4)
	v_mul_f32_e32 v23, v1, v19
	v_mul_f32_e32 v26, v16, v19
	v_fma_f32 v21, v1, v14, -v21
	v_div_scale_f32 v22, null, v6, v6, v18
	s_delay_alu instid0(VALU_DEP_4) | instskip(NEXT) | instid1(VALU_DEP_4)
	v_dual_mul_f32 v23, v23, v13 :: v_dual_mul_f32 v28, 0x40400000, v16
	v_mul_f32_e32 v29, v1, v26
	s_delay_alu instid0(VALU_DEP_3) | instskip(SKIP_1) | instid1(VALU_DEP_3)
	v_rcp_f32_e32 v27, v22
	v_div_scale_f32 v35, vcc_lo, v18, v6, v18
	v_div_scale_f32 v30, null, v6, v6, v23
	s_delay_alu instid0(VALU_DEP_3) | instskip(SKIP_1) | instid1(VALU_DEP_3)
	v_dual_mul_f32 v29, v29, v13 :: v_dual_mul_f32 v26, v16, v26
	v_div_scale_f32 v36, s0, v23, v6, v23
	v_rcp_f32_e32 v34, v30
	s_waitcnt_depctr 0xfff
	v_fma_f32 v33, -v22, v27, 1.0
	v_dual_mul_f32 v32, v6, v25 :: v_dual_mul_f32 v19, 0x40c00000, v19
	s_delay_alu instid0(VALU_DEP_2) | instskip(SKIP_3) | instid1(VALU_DEP_4)
	v_fmac_f32_e32 v27, v33, v27
	v_mul_f32_e32 v24, v1, v1
	v_mul_f32_e32 v20, v20, v29
	v_fma_f32 v33, -v30, v34, 1.0
	v_mul_f32_e32 v29, v35, v27
	v_mul_f32_e32 v21, v28, v21
	v_fma_f32 v31, -v1, v13, v24
	s_delay_alu instid0(VALU_DEP_4) | instskip(NEXT) | instid1(VALU_DEP_4)
	v_fmac_f32_e32 v34, v33, v34
	v_fma_f32 v38, -v22, v29, v35
	s_delay_alu instid0(VALU_DEP_4) | instskip(NEXT) | instid1(VALU_DEP_4)
	v_div_scale_f32 v33, null, v6, v6, v21
	v_fmac_f32_e32 v31, v13, v13
	s_delay_alu instid0(VALU_DEP_3) | instskip(SKIP_3) | instid1(VALU_DEP_3)
	v_fmac_f32_e32 v29, v38, v27
	v_div_scale_f32 v28, null, v25, v25, v20
	v_mul_f32_e32 v38, v36, v34
	v_rcp_f32_e32 v39, v33
	v_fma_f32 v22, -v22, v29, v35
	s_delay_alu instid0(VALU_DEP_3) | instskip(SKIP_2) | instid1(VALU_DEP_3)
	v_rcp_f32_e32 v37, v28
	v_mul_f32_e32 v14, v24, v14
	v_fma_f32 v35, -v30, v38, v36
	v_div_fmas_f32 v22, v22, v27, v29
	v_mul_f32_e32 v27, v13, v13
	s_mov_b32 vcc_lo, s0
	s_delay_alu instid0(VALU_DEP_3) | instskip(SKIP_2) | instid1(VALU_DEP_1)
	v_fmac_f32_e32 v38, v35, v34
	s_waitcnt_depctr 0xfff
	v_fma_f32 v40, -v28, v37, 1.0
	v_dual_mul_f32 v26, v1, v26 :: v_dual_fmac_f32 v37, v40, v37
	s_delay_alu instid0(VALU_DEP_1) | instskip(NEXT) | instid1(VALU_DEP_1)
	v_mul_f32_e32 v26, v26, v13
	v_dual_mul_f32 v13, v10, v13 :: v_dual_mul_f32 v26, v31, v26
	s_waitcnt lgkmcnt(1)
	s_delay_alu instid0(VALU_DEP_1) | instskip(SKIP_1) | instid1(VALU_DEP_3)
	v_fma_f32 v1, v1, v12, -v13
	v_div_scale_f32 v31, s2, v21, v6, v21
	v_div_scale_f32 v24, null, v32, v32, v26
	s_delay_alu instid0(VALU_DEP_1) | instskip(SKIP_2) | instid1(VALU_DEP_1)
	v_rcp_f32_e32 v29, v24
	s_waitcnt_depctr 0xfff
	v_fma_f32 v35, -v24, v29, 1.0
	v_dual_mul_f32 v16, 4.0, v16 :: v_dual_fmac_f32 v29, v35, v29
	s_delay_alu instid0(VALU_DEP_1) | instskip(SKIP_2) | instid1(VALU_DEP_3)
	v_dual_fmac_f32 v14, v9, v27 :: v_dual_mul_f32 v1, v16, v1
	v_div_scale_f32 v9, s1, v20, v25, v20
	v_fma_f32 v27, -v33, v39, 1.0
	v_mul_f32_e32 v14, v19, v14
	v_fma_f32 v19, -v30, v38, v36
	v_div_scale_f32 v36, s0, v26, v32, v26
	s_delay_alu instid0(VALU_DEP_4) | instskip(SKIP_1) | instid1(VALU_DEP_3)
	v_dual_mul_f32 v30, v9, v37 :: v_dual_fmac_f32 v39, v27, v39
	v_div_scale_f32 v35, null, v6, v6, v1
	v_mul_f32_e32 v41, v36, v29
	v_div_scale_f32 v27, null, v25, v25, v14
	s_delay_alu instid0(VALU_DEP_4) | instskip(NEXT) | instid1(VALU_DEP_4)
	v_fma_f32 v16, -v28, v30, v9
	v_rcp_f32_e32 v40, v35
	v_div_fmas_f32 v19, v19, v34, v38
	s_delay_alu instid0(VALU_DEP_3) | instskip(SKIP_4) | instid1(VALU_DEP_3)
	v_rcp_f32_e32 v13, v27
	s_mov_b32 vcc_lo, s1
	v_fmac_f32_e32 v30, v16, v37
	v_add_f32_e32 v10, v10, v12
	v_fma_f32 v12, -v24, v41, v36
	v_fma_f32 v9, -v28, v30, v9
	s_delay_alu instid0(TRANS32_DEP_2) | instskip(NEXT) | instid1(VALU_DEP_3)
	v_fma_f32 v28, -v35, v40, 1.0
	v_fmac_f32_e32 v41, v12, v29
	s_delay_alu instid0(TRANS32_DEP_1)
	v_fma_f32 v38, -v27, v13, 1.0
	v_mul_f32_e32 v34, v31, v39
	v_div_fmas_f32 v9, v9, v37, v30
	v_fmac_f32_e32 v40, v28, v40
	v_div_scale_f32 v28, s1, v1, v6, v1
	v_fmac_f32_e32 v13, v38, v13
	v_fma_f32 v16, -v33, v34, v31
	v_div_scale_f32 v38, s3, v14, v25, v14
	v_div_fixup_f32 v9, v9, v25, v20
	v_fma_f32 v24, -v24, v41, v36
	s_delay_alu instid0(VALU_DEP_4) | instskip(SKIP_3) | instid1(VALU_DEP_2)
	v_fmac_f32_e32 v34, v16, v39
	s_mov_b32 vcc_lo, s2
	s_waitcnt lgkmcnt(0)
	v_dual_add_f32 v9, v10, v9 :: v_dual_add_f32 v8, v11, v8
	v_fma_f32 v30, -v33, v34, v31
	v_dual_mul_f32 v31, v28, v40 :: v_dual_mul_f32 v16, v38, v13
	s_delay_alu instid0(VALU_DEP_2) | instskip(SKIP_1) | instid1(VALU_DEP_2)
	v_div_fmas_f32 v30, v30, v39, v34
	s_mov_b32 vcc_lo, s0
	v_fma_f32 v12, -v27, v16, v38
	s_delay_alu instid0(VALU_DEP_1) | instskip(SKIP_3) | instid1(VALU_DEP_3)
	v_fmac_f32_e32 v16, v12, v13
	v_div_fmas_f32 v12, v24, v29, v41
	v_fma_f32 v24, -v35, v31, v28
	s_mov_b32 vcc_lo, s3
	v_fma_f32 v11, -v27, v16, v38
	s_delay_alu instid0(VALU_DEP_3) | instskip(NEXT) | instid1(VALU_DEP_3)
	v_div_fixup_f32 v12, v12, v32, v26
	v_fmac_f32_e32 v31, v24, v40
	s_delay_alu instid0(VALU_DEP_3) | instskip(SKIP_1) | instid1(VALU_DEP_2)
	v_div_fmas_f32 v11, v11, v13, v16
	s_mov_b32 vcc_lo, s1
	v_fma_f32 v10, -v35, v31, v28
	v_div_fixup_f32 v13, v19, v6, v23
	v_add_f32_e32 v8, v8, v12
	v_div_fixup_f32 v11, v11, v25, v14
	v_div_fixup_f32 v12, v30, v6, v21
	v_div_fmas_f32 v10, v10, v40, v31
	v_div_fixup_f32 v14, v22, v6, v18
	v_add_f32_e32 v16, v17, v13
	s_delay_alu instid0(VALU_DEP_4) | instskip(NEXT) | instid1(VALU_DEP_4)
	v_dual_add_f32 v8, v11, v8 :: v_dual_add_f32 v17, v12, v9
	v_div_fixup_f32 v1, v10, v6, v1
	v_cmp_lt_f32_e32 vcc_lo, v3, v7
	s_delay_alu instid0(VALU_DEP_4)
	v_mov_b32_e32 v9, v16
	v_add_f32_e32 v4, v4, v14
	v_mov_b32_e32 v10, v17
	v_add_f32_e32 v11, v1, v8
	v_cndmask_b32_e32 v3, v3, v7, vcc_lo
	v_mov_b32_e32 v1, v6
.LBB7_30:
	s_or_b32 exec_lo, exec_lo, s6
	v_cmp_gt_u32_e32 vcc_lo, 4, v5
	v_add_nc_u32_e32 v5, 4, v5
	s_mov_b32 s6, exec_lo
	s_waitcnt lgkmcnt(4)
	v_cndmask_b32_e64 v7, 0, 1, vcc_lo
	s_delay_alu instid0(VALU_DEP_1) | instskip(SKIP_1) | instid1(VALU_DEP_1)
	v_lshlrev_b32_e32 v7, 2, v7
	s_waitcnt lgkmcnt(1)
	v_add_lshl_u32 v12, v7, v15, 2
	ds_bpermute_b32 v13, v12, v6
	ds_bpermute_b32 v14, v12, v2
	;; [unrolled: 1-line block ×4, first 2 shown]
	s_waitcnt lgkmcnt(4)
	ds_bpermute_b32 v8, v12, v16
	ds_bpermute_b32 v7, v12, v17
	;; [unrolled: 1-line block ×3, first 2 shown]
	v_cmpx_gt_u32_e64 s4, v5
	s_cbranch_execz .LBB7_32
; %bb.31:
	v_mul_f32_e32 v20, v1, v1
	s_waitcnt lgkmcnt(5)
	v_cmp_gt_f32_e32 vcc_lo, v2, v14
	s_waitcnt lgkmcnt(3)
	v_dual_sub_f32 v5, v15, v4 :: v_dual_sub_f32 v16, v1, v13
	v_fma_f32 v27, -v1, v13, v20
	s_delay_alu instid0(VALU_DEP_2) | instskip(NEXT) | instid1(VALU_DEP_2)
	v_dual_cndmask_b32 v2, v2, v14 :: v_dual_mul_f32 v25, 0x40400000, v5
	v_fmac_f32_e32 v27, v13, v13
	v_mul_f32_e32 v18, v5, v5
	s_delay_alu instid0(VALU_DEP_1) | instskip(NEXT) | instid1(VALU_DEP_1)
	v_mul_f32_e32 v23, v5, v18
	v_mul_f32_e32 v26, v1, v23
	v_mul_f32_e32 v23, v5, v23
	s_delay_alu instid0(VALU_DEP_1) | instskip(NEXT) | instid1(VALU_DEP_1)
	v_mul_f32_e32 v23, v1, v23
	v_mul_f32_e32 v23, v23, v13
	s_delay_alu instid0(VALU_DEP_4) | instskip(SKIP_1) | instid1(VALU_DEP_2)
	v_mul_f32_e32 v26, v26, v13
	v_add_f32_e32 v15, v1, v13
	v_dual_mul_f32 v23, v27, v23 :: v_dual_mul_f32 v16, v16, v26
	s_delay_alu instid0(VALU_DEP_2) | instskip(SKIP_2) | instid1(VALU_DEP_3)
	v_dual_mul_f32 v14, v5, v13 :: v_dual_mul_f32 v21, v15, v15
	v_mul_f32_e32 v22, v1, v18
	v_dual_mul_f32 v18, 0x40c00000, v18 :: v_dual_mul_f32 v5, 4.0, v5
	v_div_scale_f32 v19, null, v15, v15, v14
	s_delay_alu instid0(VALU_DEP_3) | instskip(SKIP_1) | instid1(VALU_DEP_3)
	v_mul_f32_e32 v22, v22, v13
	v_div_scale_f32 v31, vcc_lo, v14, v15, v14
	v_rcp_f32_e32 v24, v19
	v_mul_f32_e32 v28, v15, v21
	s_delay_alu instid0(VALU_DEP_3) | instskip(SKIP_1) | instid1(VALU_DEP_2)
	v_div_scale_f32 v29, null, v15, v15, v22
	v_div_scale_f32 v36, s0, v22, v15, v22
	v_rcp_f32_e32 v32, v29
	s_waitcnt_depctr 0xfff
	v_fma_f32 v30, -v19, v24, 1.0
	s_delay_alu instid0(VALU_DEP_1) | instskip(SKIP_1) | instid1(VALU_DEP_1)
	v_dual_mul_f32 v17, v9, v13 :: v_dual_fmac_f32 v24, v30, v24
	s_waitcnt lgkmcnt(2)
	v_fma_f32 v17, v1, v8, -v17
	v_fma_f32 v33, -v29, v32, 1.0
	s_delay_alu instid0(VALU_DEP_2) | instskip(NEXT) | instid1(VALU_DEP_2)
	v_dual_mul_f32 v26, v31, v24 :: v_dual_mul_f32 v17, v25, v17
	v_fmac_f32_e32 v32, v33, v32
	v_div_scale_f32 v25, null, v21, v21, v16
	s_delay_alu instid0(VALU_DEP_3) | instskip(NEXT) | instid1(VALU_DEP_4)
	v_fma_f32 v35, -v19, v26, v31
	v_div_scale_f32 v30, null, v15, v15, v17
	s_delay_alu instid0(VALU_DEP_3) | instskip(NEXT) | instid1(VALU_DEP_2)
	v_rcp_f32_e32 v34, v25
	v_fmac_f32_e32 v26, v35, v24
	s_delay_alu instid0(VALU_DEP_2) | instskip(NEXT) | instid1(VALU_DEP_1)
	v_rcp_f32_e32 v33, v30
	v_fma_f32 v19, -v19, v26, v31
	v_mul_f32_e32 v31, v13, v13
	v_mul_f32_e32 v13, v10, v13
	s_waitcnt_depctr 0xfff
	v_fma_f32 v37, -v25, v34, 1.0
	v_div_fmas_f32 v19, v19, v24, v26
	v_fma_f32 v27, -v30, v33, 1.0
	v_div_scale_f32 v24, null, v28, v28, v23
	s_delay_alu instid0(VALU_DEP_4) | instskip(NEXT) | instid1(VALU_DEP_4)
	v_fmac_f32_e32 v34, v37, v34
	v_div_fixup_f32 v14, v19, v15, v14
	s_delay_alu instid0(VALU_DEP_4)
	v_fmac_f32_e32 v33, v27, v33
	v_mul_f32_e32 v35, v36, v32
	v_div_scale_f32 v19, s1, v16, v21, v16
	s_waitcnt lgkmcnt(1)
	v_fma_f32 v1, v1, v7, -v13
	s_mov_b32 vcc_lo, s0
	v_fma_f32 v26, -v29, v35, v36
	v_div_scale_f32 v27, s2, v17, v15, v17
	s_delay_alu instid0(VALU_DEP_3) | instskip(SKIP_1) | instid1(VALU_DEP_4)
	v_mul_f32_e32 v1, v5, v1
	v_add_f32_e32 v7, v10, v7
	v_fmac_f32_e32 v35, v26, v32
	v_mul_f32_e32 v20, v20, v8
	v_add_f32_e32 v8, v9, v8
	v_div_scale_f32 v39, null, v15, v15, v1
	s_delay_alu instid0(VALU_DEP_4) | instskip(NEXT) | instid1(VALU_DEP_4)
	v_fma_f32 v13, -v29, v35, v36
	v_fmac_f32_e32 v20, v9, v31
	v_rcp_f32_e32 v31, v24
	s_waitcnt lgkmcnt(0)
	v_dual_add_f32 v9, v11, v12 :: v_dual_add_f32 v4, v4, v14
	v_div_fmas_f32 v13, v13, v32, v35
	v_mul_f32_e32 v18, v18, v20
	v_mul_f32_e32 v20, v19, v34
	s_mov_b32 vcc_lo, s1
	s_delay_alu instid0(VALU_DEP_2)
	v_div_scale_f32 v26, null, v21, v21, v18
	s_waitcnt_depctr 0xfff
	v_fma_f32 v37, -v24, v31, 1.0
	v_fma_f32 v29, -v25, v20, v19
	v_div_scale_f32 v41, s4, v18, v21, v18
	v_rcp_f32_e32 v38, v26
	s_delay_alu instid0(VALU_DEP_3) | instskip(SKIP_1) | instid1(VALU_DEP_1)
	v_fmac_f32_e32 v31, v37, v31
	v_div_scale_f32 v5, s3, v23, v28, v23
	v_mul_f32_e32 v40, v5, v31
	s_waitcnt_depctr 0xfff
	v_fma_f32 v37, -v26, v38, 1.0
	s_delay_alu instid0(VALU_DEP_1)
	v_fmac_f32_e32 v38, v37, v38
	v_rcp_f32_e32 v37, v39
	v_mul_f32_e32 v36, v27, v33
	s_waitcnt_depctr 0xfff
	v_fma_f32 v32, -v39, v37, 1.0
	v_fmac_f32_e32 v20, v29, v34
	v_fma_f32 v29, -v30, v36, v27
	s_delay_alu instid0(VALU_DEP_3) | instskip(NEXT) | instid1(VALU_DEP_3)
	v_fmac_f32_e32 v37, v32, v37
	v_fma_f32 v19, -v25, v20, v19
	v_fma_f32 v25, -v24, v40, v5
	s_delay_alu instid0(VALU_DEP_2) | instskip(NEXT) | instid1(VALU_DEP_2)
	v_div_fmas_f32 v19, v19, v34, v20
	v_fmac_f32_e32 v40, v25, v31
	s_mov_b32 vcc_lo, s2
	s_delay_alu instid0(VALU_DEP_2) | instskip(SKIP_3) | instid1(VALU_DEP_4)
	v_div_fixup_f32 v10, v19, v21, v16
	v_fmac_f32_e32 v36, v29, v33
	v_mul_f32_e32 v29, v41, v38
	v_fma_f32 v5, -v24, v40, v5
	v_add_f32_e32 v7, v7, v10
	s_delay_alu instid0(VALU_DEP_4) | instskip(SKIP_2) | instid1(VALU_DEP_3)
	v_fma_f32 v20, -v30, v36, v27
	v_div_scale_f32 v27, s0, v1, v15, v1
	v_fma_f32 v25, -v26, v29, v41
	v_div_fmas_f32 v20, v20, v33, v36
	s_delay_alu instid0(VALU_DEP_3) | instskip(SKIP_1) | instid1(VALU_DEP_3)
	v_mul_f32_e32 v24, v27, v37
	s_mov_b32 vcc_lo, s3
	v_fmac_f32_e32 v29, v25, v38
	v_div_fmas_f32 v5, v5, v31, v40
	s_mov_b32 vcc_lo, s4
	v_fma_f32 v25, -v39, v24, v27
	v_div_fixup_f32 v10, v20, v15, v17
	v_fma_f32 v11, -v26, v29, v41
	v_div_fixup_f32 v5, v5, v28, v23
	s_delay_alu instid0(VALU_DEP_4) | instskip(NEXT) | instid1(VALU_DEP_4)
	v_fmac_f32_e32 v24, v25, v37
	v_add_f32_e32 v10, v10, v7
	s_delay_alu instid0(VALU_DEP_4) | instskip(SKIP_3) | instid1(VALU_DEP_3)
	v_div_fmas_f32 v11, v11, v38, v29
	s_mov_b32 vcc_lo, s0
	v_add_f32_e32 v5, v9, v5
	v_fma_f32 v12, -v39, v24, v27
	v_div_fixup_f32 v9, v11, v21, v18
	s_delay_alu instid0(VALU_DEP_2) | instskip(SKIP_1) | instid1(VALU_DEP_3)
	v_div_fmas_f32 v11, v12, v37, v24
	v_div_fixup_f32 v12, v13, v15, v22
	v_add_f32_e32 v5, v9, v5
	v_cmp_lt_f32_e32 vcc_lo, v3, v6
	s_delay_alu instid0(VALU_DEP_4) | instskip(SKIP_1) | instid1(VALU_DEP_2)
	v_div_fixup_f32 v1, v11, v15, v1
	v_cndmask_b32_e32 v3, v3, v6, vcc_lo
	v_add_f32_e32 v11, v1, v5
	v_mov_b32_e32 v1, v15
	v_add_f32_e32 v9, v8, v12
.LBB7_32:
	s_or_b32 exec_lo, exec_lo, s6
.LBB7_33:
	s_delay_alu instid0(SALU_CYCLE_1)
	s_or_b32 exec_lo, exec_lo, s5
.LBB7_34:
	s_delay_alu instid0(SALU_CYCLE_1)
	s_mov_b32 s0, exec_lo
	v_cmpx_eq_u32_e32 0, v0
	s_cbranch_execz .LBB7_38
; %bb.35:
	s_waitcnt lgkmcnt(4)
	v_dual_mov_b32 v5, s16 :: v_dual_mov_b32 v6, s17
	s_waitcnt lgkmcnt(1)
	v_dual_mov_b32 v7, s18 :: v_dual_mov_b32 v8, s19
	;; [unrolled: 2-line block ×3, first 2 shown]
	v_mov_b32_e32 v14, s22
	s_cmp_eq_u64 s[8:9], 0
	s_cbranch_scc1 .LBB7_37
; %bb.36:
	v_dual_mov_b32 v5, v1 :: v_dual_mov_b32 v6, v2
	v_dual_mov_b32 v7, v3 :: v_dual_mov_b32 v8, v4
	;; [unrolled: 1-line block ×3, first 2 shown]
	v_mov_b32_e32 v14, v11
.LBB7_37:
	s_mul_i32 s0, s14, s13
	s_mul_hi_u32 s1, s14, s12
	s_mul_i32 s2, s15, s12
	s_add_i32 s0, s1, s0
	s_mul_i32 s1, s14, s12
	s_add_i32 s0, s0, s2
	s_mul_hi_u32 s2, s1, 28
	s_mul_i32 s0, s0, 28
	s_mul_i32 s1, s1, 28
	s_add_i32 s2, s2, s0
	s_add_u32 s0, s10, s1
	s_addc_u32 s1, s11, s2
	s_mul_i32 s2, s24, 28
	v_mov_b32_e32 v0, 0
	s_mul_hi_u32 s3, s24, 28
	s_add_u32 s0, s0, s2
	s_addc_u32 s1, s1, s3
	s_clause 0x1
	global_store_b128 v0, v[5:8], s[0:1]
	global_store_b96 v0, v[12:14], s[0:1] offset:16
.LBB7_38:
	s_nop 0
	s_sendmsg sendmsg(MSG_DEALLOC_VGPRS)
	s_endpgm
	.section	.rodata,"a",@progbits
	.p2align	6, 0x0
	.amdhsa_kernel _ZN7rocprim17ROCPRIM_400000_NS6detail17trampoline_kernelINS0_14default_configENS1_22reduce_config_selectorI18summary_stats_dataIfEEEZNS1_11reduce_implILb1ES3_PS6_S9_S6_23summary_stats_binary_opIfEEE10hipError_tPvRmT1_T2_T3_mT4_P12ihipStream_tbEUlT_E0_NS1_11comp_targetILNS1_3genE9ELNS1_11target_archE1100ELNS1_3gpuE3ELNS1_3repE0EEENS1_30default_config_static_selectorELNS0_4arch9wavefront6targetE0EEEvSF_
		.amdhsa_group_segment_fixed_size 448
		.amdhsa_private_segment_fixed_size 0
		.amdhsa_kernarg_size 80
		.amdhsa_user_sgpr_count 15
		.amdhsa_user_sgpr_dispatch_ptr 0
		.amdhsa_user_sgpr_queue_ptr 0
		.amdhsa_user_sgpr_kernarg_segment_ptr 1
		.amdhsa_user_sgpr_dispatch_id 0
		.amdhsa_user_sgpr_private_segment_size 0
		.amdhsa_wavefront_size32 1
		.amdhsa_uses_dynamic_stack 0
		.amdhsa_enable_private_segment 0
		.amdhsa_system_sgpr_workgroup_id_x 1
		.amdhsa_system_sgpr_workgroup_id_y 0
		.amdhsa_system_sgpr_workgroup_id_z 0
		.amdhsa_system_sgpr_workgroup_info 0
		.amdhsa_system_vgpr_workitem_id 0
		.amdhsa_next_free_vgpr 76
		.amdhsa_next_free_sgpr 28
		.amdhsa_reserve_vcc 1
		.amdhsa_float_round_mode_32 0
		.amdhsa_float_round_mode_16_64 0
		.amdhsa_float_denorm_mode_32 3
		.amdhsa_float_denorm_mode_16_64 3
		.amdhsa_dx10_clamp 1
		.amdhsa_ieee_mode 1
		.amdhsa_fp16_overflow 0
		.amdhsa_workgroup_processor_mode 1
		.amdhsa_memory_ordered 1
		.amdhsa_forward_progress 0
		.amdhsa_shared_vgpr_count 0
		.amdhsa_exception_fp_ieee_invalid_op 0
		.amdhsa_exception_fp_denorm_src 0
		.amdhsa_exception_fp_ieee_div_zero 0
		.amdhsa_exception_fp_ieee_overflow 0
		.amdhsa_exception_fp_ieee_underflow 0
		.amdhsa_exception_fp_ieee_inexact 0
		.amdhsa_exception_int_div_zero 0
	.end_amdhsa_kernel
	.section	.text._ZN7rocprim17ROCPRIM_400000_NS6detail17trampoline_kernelINS0_14default_configENS1_22reduce_config_selectorI18summary_stats_dataIfEEEZNS1_11reduce_implILb1ES3_PS6_S9_S6_23summary_stats_binary_opIfEEE10hipError_tPvRmT1_T2_T3_mT4_P12ihipStream_tbEUlT_E0_NS1_11comp_targetILNS1_3genE9ELNS1_11target_archE1100ELNS1_3gpuE3ELNS1_3repE0EEENS1_30default_config_static_selectorELNS0_4arch9wavefront6targetE0EEEvSF_,"axG",@progbits,_ZN7rocprim17ROCPRIM_400000_NS6detail17trampoline_kernelINS0_14default_configENS1_22reduce_config_selectorI18summary_stats_dataIfEEEZNS1_11reduce_implILb1ES3_PS6_S9_S6_23summary_stats_binary_opIfEEE10hipError_tPvRmT1_T2_T3_mT4_P12ihipStream_tbEUlT_E0_NS1_11comp_targetILNS1_3genE9ELNS1_11target_archE1100ELNS1_3gpuE3ELNS1_3repE0EEENS1_30default_config_static_selectorELNS0_4arch9wavefront6targetE0EEEvSF_,comdat
.Lfunc_end7:
	.size	_ZN7rocprim17ROCPRIM_400000_NS6detail17trampoline_kernelINS0_14default_configENS1_22reduce_config_selectorI18summary_stats_dataIfEEEZNS1_11reduce_implILb1ES3_PS6_S9_S6_23summary_stats_binary_opIfEEE10hipError_tPvRmT1_T2_T3_mT4_P12ihipStream_tbEUlT_E0_NS1_11comp_targetILNS1_3genE9ELNS1_11target_archE1100ELNS1_3gpuE3ELNS1_3repE0EEENS1_30default_config_static_selectorELNS0_4arch9wavefront6targetE0EEEvSF_, .Lfunc_end7-_ZN7rocprim17ROCPRIM_400000_NS6detail17trampoline_kernelINS0_14default_configENS1_22reduce_config_selectorI18summary_stats_dataIfEEEZNS1_11reduce_implILb1ES3_PS6_S9_S6_23summary_stats_binary_opIfEEE10hipError_tPvRmT1_T2_T3_mT4_P12ihipStream_tbEUlT_E0_NS1_11comp_targetILNS1_3genE9ELNS1_11target_archE1100ELNS1_3gpuE3ELNS1_3repE0EEENS1_30default_config_static_selectorELNS0_4arch9wavefront6targetE0EEEvSF_
                                        ; -- End function
	.section	.AMDGPU.csdata,"",@progbits
; Kernel info:
; codeLenInByte = 17788
; NumSgprs: 30
; NumVgprs: 76
; ScratchSize: 0
; MemoryBound: 1
; FloatMode: 240
; IeeeMode: 1
; LDSByteSize: 448 bytes/workgroup (compile time only)
; SGPRBlocks: 3
; VGPRBlocks: 9
; NumSGPRsForWavesPerEU: 30
; NumVGPRsForWavesPerEU: 76
; Occupancy: 16
; WaveLimiterHint : 1
; COMPUTE_PGM_RSRC2:SCRATCH_EN: 0
; COMPUTE_PGM_RSRC2:USER_SGPR: 15
; COMPUTE_PGM_RSRC2:TRAP_HANDLER: 0
; COMPUTE_PGM_RSRC2:TGID_X_EN: 1
; COMPUTE_PGM_RSRC2:TGID_Y_EN: 0
; COMPUTE_PGM_RSRC2:TGID_Z_EN: 0
; COMPUTE_PGM_RSRC2:TIDIG_COMP_CNT: 0
	.section	.text._ZN7rocprim17ROCPRIM_400000_NS6detail17trampoline_kernelINS0_14default_configENS1_22reduce_config_selectorI18summary_stats_dataIfEEEZNS1_11reduce_implILb1ES3_PS6_S9_S6_23summary_stats_binary_opIfEEE10hipError_tPvRmT1_T2_T3_mT4_P12ihipStream_tbEUlT_E0_NS1_11comp_targetILNS1_3genE8ELNS1_11target_archE1030ELNS1_3gpuE2ELNS1_3repE0EEENS1_30default_config_static_selectorELNS0_4arch9wavefront6targetE0EEEvSF_,"axG",@progbits,_ZN7rocprim17ROCPRIM_400000_NS6detail17trampoline_kernelINS0_14default_configENS1_22reduce_config_selectorI18summary_stats_dataIfEEEZNS1_11reduce_implILb1ES3_PS6_S9_S6_23summary_stats_binary_opIfEEE10hipError_tPvRmT1_T2_T3_mT4_P12ihipStream_tbEUlT_E0_NS1_11comp_targetILNS1_3genE8ELNS1_11target_archE1030ELNS1_3gpuE2ELNS1_3repE0EEENS1_30default_config_static_selectorELNS0_4arch9wavefront6targetE0EEEvSF_,comdat
	.protected	_ZN7rocprim17ROCPRIM_400000_NS6detail17trampoline_kernelINS0_14default_configENS1_22reduce_config_selectorI18summary_stats_dataIfEEEZNS1_11reduce_implILb1ES3_PS6_S9_S6_23summary_stats_binary_opIfEEE10hipError_tPvRmT1_T2_T3_mT4_P12ihipStream_tbEUlT_E0_NS1_11comp_targetILNS1_3genE8ELNS1_11target_archE1030ELNS1_3gpuE2ELNS1_3repE0EEENS1_30default_config_static_selectorELNS0_4arch9wavefront6targetE0EEEvSF_ ; -- Begin function _ZN7rocprim17ROCPRIM_400000_NS6detail17trampoline_kernelINS0_14default_configENS1_22reduce_config_selectorI18summary_stats_dataIfEEEZNS1_11reduce_implILb1ES3_PS6_S9_S6_23summary_stats_binary_opIfEEE10hipError_tPvRmT1_T2_T3_mT4_P12ihipStream_tbEUlT_E0_NS1_11comp_targetILNS1_3genE8ELNS1_11target_archE1030ELNS1_3gpuE2ELNS1_3repE0EEENS1_30default_config_static_selectorELNS0_4arch9wavefront6targetE0EEEvSF_
	.globl	_ZN7rocprim17ROCPRIM_400000_NS6detail17trampoline_kernelINS0_14default_configENS1_22reduce_config_selectorI18summary_stats_dataIfEEEZNS1_11reduce_implILb1ES3_PS6_S9_S6_23summary_stats_binary_opIfEEE10hipError_tPvRmT1_T2_T3_mT4_P12ihipStream_tbEUlT_E0_NS1_11comp_targetILNS1_3genE8ELNS1_11target_archE1030ELNS1_3gpuE2ELNS1_3repE0EEENS1_30default_config_static_selectorELNS0_4arch9wavefront6targetE0EEEvSF_
	.p2align	8
	.type	_ZN7rocprim17ROCPRIM_400000_NS6detail17trampoline_kernelINS0_14default_configENS1_22reduce_config_selectorI18summary_stats_dataIfEEEZNS1_11reduce_implILb1ES3_PS6_S9_S6_23summary_stats_binary_opIfEEE10hipError_tPvRmT1_T2_T3_mT4_P12ihipStream_tbEUlT_E0_NS1_11comp_targetILNS1_3genE8ELNS1_11target_archE1030ELNS1_3gpuE2ELNS1_3repE0EEENS1_30default_config_static_selectorELNS0_4arch9wavefront6targetE0EEEvSF_,@function
_ZN7rocprim17ROCPRIM_400000_NS6detail17trampoline_kernelINS0_14default_configENS1_22reduce_config_selectorI18summary_stats_dataIfEEEZNS1_11reduce_implILb1ES3_PS6_S9_S6_23summary_stats_binary_opIfEEE10hipError_tPvRmT1_T2_T3_mT4_P12ihipStream_tbEUlT_E0_NS1_11comp_targetILNS1_3genE8ELNS1_11target_archE1030ELNS1_3gpuE2ELNS1_3repE0EEENS1_30default_config_static_selectorELNS0_4arch9wavefront6targetE0EEEvSF_: ; @_ZN7rocprim17ROCPRIM_400000_NS6detail17trampoline_kernelINS0_14default_configENS1_22reduce_config_selectorI18summary_stats_dataIfEEEZNS1_11reduce_implILb1ES3_PS6_S9_S6_23summary_stats_binary_opIfEEE10hipError_tPvRmT1_T2_T3_mT4_P12ihipStream_tbEUlT_E0_NS1_11comp_targetILNS1_3genE8ELNS1_11target_archE1030ELNS1_3gpuE2ELNS1_3repE0EEENS1_30default_config_static_selectorELNS0_4arch9wavefront6targetE0EEEvSF_
; %bb.0:
	.section	.rodata,"a",@progbits
	.p2align	6, 0x0
	.amdhsa_kernel _ZN7rocprim17ROCPRIM_400000_NS6detail17trampoline_kernelINS0_14default_configENS1_22reduce_config_selectorI18summary_stats_dataIfEEEZNS1_11reduce_implILb1ES3_PS6_S9_S6_23summary_stats_binary_opIfEEE10hipError_tPvRmT1_T2_T3_mT4_P12ihipStream_tbEUlT_E0_NS1_11comp_targetILNS1_3genE8ELNS1_11target_archE1030ELNS1_3gpuE2ELNS1_3repE0EEENS1_30default_config_static_selectorELNS0_4arch9wavefront6targetE0EEEvSF_
		.amdhsa_group_segment_fixed_size 0
		.amdhsa_private_segment_fixed_size 0
		.amdhsa_kernarg_size 80
		.amdhsa_user_sgpr_count 15
		.amdhsa_user_sgpr_dispatch_ptr 0
		.amdhsa_user_sgpr_queue_ptr 0
		.amdhsa_user_sgpr_kernarg_segment_ptr 1
		.amdhsa_user_sgpr_dispatch_id 0
		.amdhsa_user_sgpr_private_segment_size 0
		.amdhsa_wavefront_size32 1
		.amdhsa_uses_dynamic_stack 0
		.amdhsa_enable_private_segment 0
		.amdhsa_system_sgpr_workgroup_id_x 1
		.amdhsa_system_sgpr_workgroup_id_y 0
		.amdhsa_system_sgpr_workgroup_id_z 0
		.amdhsa_system_sgpr_workgroup_info 0
		.amdhsa_system_vgpr_workitem_id 0
		.amdhsa_next_free_vgpr 1
		.amdhsa_next_free_sgpr 1
		.amdhsa_reserve_vcc 0
		.amdhsa_float_round_mode_32 0
		.amdhsa_float_round_mode_16_64 0
		.amdhsa_float_denorm_mode_32 3
		.amdhsa_float_denorm_mode_16_64 3
		.amdhsa_dx10_clamp 1
		.amdhsa_ieee_mode 1
		.amdhsa_fp16_overflow 0
		.amdhsa_workgroup_processor_mode 1
		.amdhsa_memory_ordered 1
		.amdhsa_forward_progress 0
		.amdhsa_shared_vgpr_count 0
		.amdhsa_exception_fp_ieee_invalid_op 0
		.amdhsa_exception_fp_denorm_src 0
		.amdhsa_exception_fp_ieee_div_zero 0
		.amdhsa_exception_fp_ieee_overflow 0
		.amdhsa_exception_fp_ieee_underflow 0
		.amdhsa_exception_fp_ieee_inexact 0
		.amdhsa_exception_int_div_zero 0
	.end_amdhsa_kernel
	.section	.text._ZN7rocprim17ROCPRIM_400000_NS6detail17trampoline_kernelINS0_14default_configENS1_22reduce_config_selectorI18summary_stats_dataIfEEEZNS1_11reduce_implILb1ES3_PS6_S9_S6_23summary_stats_binary_opIfEEE10hipError_tPvRmT1_T2_T3_mT4_P12ihipStream_tbEUlT_E0_NS1_11comp_targetILNS1_3genE8ELNS1_11target_archE1030ELNS1_3gpuE2ELNS1_3repE0EEENS1_30default_config_static_selectorELNS0_4arch9wavefront6targetE0EEEvSF_,"axG",@progbits,_ZN7rocprim17ROCPRIM_400000_NS6detail17trampoline_kernelINS0_14default_configENS1_22reduce_config_selectorI18summary_stats_dataIfEEEZNS1_11reduce_implILb1ES3_PS6_S9_S6_23summary_stats_binary_opIfEEE10hipError_tPvRmT1_T2_T3_mT4_P12ihipStream_tbEUlT_E0_NS1_11comp_targetILNS1_3genE8ELNS1_11target_archE1030ELNS1_3gpuE2ELNS1_3repE0EEENS1_30default_config_static_selectorELNS0_4arch9wavefront6targetE0EEEvSF_,comdat
.Lfunc_end8:
	.size	_ZN7rocprim17ROCPRIM_400000_NS6detail17trampoline_kernelINS0_14default_configENS1_22reduce_config_selectorI18summary_stats_dataIfEEEZNS1_11reduce_implILb1ES3_PS6_S9_S6_23summary_stats_binary_opIfEEE10hipError_tPvRmT1_T2_T3_mT4_P12ihipStream_tbEUlT_E0_NS1_11comp_targetILNS1_3genE8ELNS1_11target_archE1030ELNS1_3gpuE2ELNS1_3repE0EEENS1_30default_config_static_selectorELNS0_4arch9wavefront6targetE0EEEvSF_, .Lfunc_end8-_ZN7rocprim17ROCPRIM_400000_NS6detail17trampoline_kernelINS0_14default_configENS1_22reduce_config_selectorI18summary_stats_dataIfEEEZNS1_11reduce_implILb1ES3_PS6_S9_S6_23summary_stats_binary_opIfEEE10hipError_tPvRmT1_T2_T3_mT4_P12ihipStream_tbEUlT_E0_NS1_11comp_targetILNS1_3genE8ELNS1_11target_archE1030ELNS1_3gpuE2ELNS1_3repE0EEENS1_30default_config_static_selectorELNS0_4arch9wavefront6targetE0EEEvSF_
                                        ; -- End function
	.section	.AMDGPU.csdata,"",@progbits
; Kernel info:
; codeLenInByte = 0
; NumSgprs: 0
; NumVgprs: 0
; ScratchSize: 0
; MemoryBound: 0
; FloatMode: 240
; IeeeMode: 1
; LDSByteSize: 0 bytes/workgroup (compile time only)
; SGPRBlocks: 0
; VGPRBlocks: 0
; NumSGPRsForWavesPerEU: 1
; NumVGPRsForWavesPerEU: 1
; Occupancy: 16
; WaveLimiterHint : 0
; COMPUTE_PGM_RSRC2:SCRATCH_EN: 0
; COMPUTE_PGM_RSRC2:USER_SGPR: 15
; COMPUTE_PGM_RSRC2:TRAP_HANDLER: 0
; COMPUTE_PGM_RSRC2:TGID_X_EN: 1
; COMPUTE_PGM_RSRC2:TGID_Y_EN: 0
; COMPUTE_PGM_RSRC2:TGID_Z_EN: 0
; COMPUTE_PGM_RSRC2:TIDIG_COMP_CNT: 0
	.section	.text._ZN7rocprim17ROCPRIM_400000_NS6detail17trampoline_kernelINS0_14default_configENS1_22reduce_config_selectorI18summary_stats_dataIfEEEZNS1_11reduce_implILb1ES3_PS6_S9_S6_23summary_stats_binary_opIfEEE10hipError_tPvRmT1_T2_T3_mT4_P12ihipStream_tbEUlT_E1_NS1_11comp_targetILNS1_3genE0ELNS1_11target_archE4294967295ELNS1_3gpuE0ELNS1_3repE0EEENS1_30default_config_static_selectorELNS0_4arch9wavefront6targetE0EEEvSF_,"axG",@progbits,_ZN7rocprim17ROCPRIM_400000_NS6detail17trampoline_kernelINS0_14default_configENS1_22reduce_config_selectorI18summary_stats_dataIfEEEZNS1_11reduce_implILb1ES3_PS6_S9_S6_23summary_stats_binary_opIfEEE10hipError_tPvRmT1_T2_T3_mT4_P12ihipStream_tbEUlT_E1_NS1_11comp_targetILNS1_3genE0ELNS1_11target_archE4294967295ELNS1_3gpuE0ELNS1_3repE0EEENS1_30default_config_static_selectorELNS0_4arch9wavefront6targetE0EEEvSF_,comdat
	.protected	_ZN7rocprim17ROCPRIM_400000_NS6detail17trampoline_kernelINS0_14default_configENS1_22reduce_config_selectorI18summary_stats_dataIfEEEZNS1_11reduce_implILb1ES3_PS6_S9_S6_23summary_stats_binary_opIfEEE10hipError_tPvRmT1_T2_T3_mT4_P12ihipStream_tbEUlT_E1_NS1_11comp_targetILNS1_3genE0ELNS1_11target_archE4294967295ELNS1_3gpuE0ELNS1_3repE0EEENS1_30default_config_static_selectorELNS0_4arch9wavefront6targetE0EEEvSF_ ; -- Begin function _ZN7rocprim17ROCPRIM_400000_NS6detail17trampoline_kernelINS0_14default_configENS1_22reduce_config_selectorI18summary_stats_dataIfEEEZNS1_11reduce_implILb1ES3_PS6_S9_S6_23summary_stats_binary_opIfEEE10hipError_tPvRmT1_T2_T3_mT4_P12ihipStream_tbEUlT_E1_NS1_11comp_targetILNS1_3genE0ELNS1_11target_archE4294967295ELNS1_3gpuE0ELNS1_3repE0EEENS1_30default_config_static_selectorELNS0_4arch9wavefront6targetE0EEEvSF_
	.globl	_ZN7rocprim17ROCPRIM_400000_NS6detail17trampoline_kernelINS0_14default_configENS1_22reduce_config_selectorI18summary_stats_dataIfEEEZNS1_11reduce_implILb1ES3_PS6_S9_S6_23summary_stats_binary_opIfEEE10hipError_tPvRmT1_T2_T3_mT4_P12ihipStream_tbEUlT_E1_NS1_11comp_targetILNS1_3genE0ELNS1_11target_archE4294967295ELNS1_3gpuE0ELNS1_3repE0EEENS1_30default_config_static_selectorELNS0_4arch9wavefront6targetE0EEEvSF_
	.p2align	8
	.type	_ZN7rocprim17ROCPRIM_400000_NS6detail17trampoline_kernelINS0_14default_configENS1_22reduce_config_selectorI18summary_stats_dataIfEEEZNS1_11reduce_implILb1ES3_PS6_S9_S6_23summary_stats_binary_opIfEEE10hipError_tPvRmT1_T2_T3_mT4_P12ihipStream_tbEUlT_E1_NS1_11comp_targetILNS1_3genE0ELNS1_11target_archE4294967295ELNS1_3gpuE0ELNS1_3repE0EEENS1_30default_config_static_selectorELNS0_4arch9wavefront6targetE0EEEvSF_,@function
_ZN7rocprim17ROCPRIM_400000_NS6detail17trampoline_kernelINS0_14default_configENS1_22reduce_config_selectorI18summary_stats_dataIfEEEZNS1_11reduce_implILb1ES3_PS6_S9_S6_23summary_stats_binary_opIfEEE10hipError_tPvRmT1_T2_T3_mT4_P12ihipStream_tbEUlT_E1_NS1_11comp_targetILNS1_3genE0ELNS1_11target_archE4294967295ELNS1_3gpuE0ELNS1_3repE0EEENS1_30default_config_static_selectorELNS0_4arch9wavefront6targetE0EEEvSF_: ; @_ZN7rocprim17ROCPRIM_400000_NS6detail17trampoline_kernelINS0_14default_configENS1_22reduce_config_selectorI18summary_stats_dataIfEEEZNS1_11reduce_implILb1ES3_PS6_S9_S6_23summary_stats_binary_opIfEEE10hipError_tPvRmT1_T2_T3_mT4_P12ihipStream_tbEUlT_E1_NS1_11comp_targetILNS1_3genE0ELNS1_11target_archE4294967295ELNS1_3gpuE0ELNS1_3repE0EEENS1_30default_config_static_selectorELNS0_4arch9wavefront6targetE0EEEvSF_
; %bb.0:
	.section	.rodata,"a",@progbits
	.p2align	6, 0x0
	.amdhsa_kernel _ZN7rocprim17ROCPRIM_400000_NS6detail17trampoline_kernelINS0_14default_configENS1_22reduce_config_selectorI18summary_stats_dataIfEEEZNS1_11reduce_implILb1ES3_PS6_S9_S6_23summary_stats_binary_opIfEEE10hipError_tPvRmT1_T2_T3_mT4_P12ihipStream_tbEUlT_E1_NS1_11comp_targetILNS1_3genE0ELNS1_11target_archE4294967295ELNS1_3gpuE0ELNS1_3repE0EEENS1_30default_config_static_selectorELNS0_4arch9wavefront6targetE0EEEvSF_
		.amdhsa_group_segment_fixed_size 0
		.amdhsa_private_segment_fixed_size 0
		.amdhsa_kernarg_size 64
		.amdhsa_user_sgpr_count 15
		.amdhsa_user_sgpr_dispatch_ptr 0
		.amdhsa_user_sgpr_queue_ptr 0
		.amdhsa_user_sgpr_kernarg_segment_ptr 1
		.amdhsa_user_sgpr_dispatch_id 0
		.amdhsa_user_sgpr_private_segment_size 0
		.amdhsa_wavefront_size32 1
		.amdhsa_uses_dynamic_stack 0
		.amdhsa_enable_private_segment 0
		.amdhsa_system_sgpr_workgroup_id_x 1
		.amdhsa_system_sgpr_workgroup_id_y 0
		.amdhsa_system_sgpr_workgroup_id_z 0
		.amdhsa_system_sgpr_workgroup_info 0
		.amdhsa_system_vgpr_workitem_id 0
		.amdhsa_next_free_vgpr 1
		.amdhsa_next_free_sgpr 1
		.amdhsa_reserve_vcc 0
		.amdhsa_float_round_mode_32 0
		.amdhsa_float_round_mode_16_64 0
		.amdhsa_float_denorm_mode_32 3
		.amdhsa_float_denorm_mode_16_64 3
		.amdhsa_dx10_clamp 1
		.amdhsa_ieee_mode 1
		.amdhsa_fp16_overflow 0
		.amdhsa_workgroup_processor_mode 1
		.amdhsa_memory_ordered 1
		.amdhsa_forward_progress 0
		.amdhsa_shared_vgpr_count 0
		.amdhsa_exception_fp_ieee_invalid_op 0
		.amdhsa_exception_fp_denorm_src 0
		.amdhsa_exception_fp_ieee_div_zero 0
		.amdhsa_exception_fp_ieee_overflow 0
		.amdhsa_exception_fp_ieee_underflow 0
		.amdhsa_exception_fp_ieee_inexact 0
		.amdhsa_exception_int_div_zero 0
	.end_amdhsa_kernel
	.section	.text._ZN7rocprim17ROCPRIM_400000_NS6detail17trampoline_kernelINS0_14default_configENS1_22reduce_config_selectorI18summary_stats_dataIfEEEZNS1_11reduce_implILb1ES3_PS6_S9_S6_23summary_stats_binary_opIfEEE10hipError_tPvRmT1_T2_T3_mT4_P12ihipStream_tbEUlT_E1_NS1_11comp_targetILNS1_3genE0ELNS1_11target_archE4294967295ELNS1_3gpuE0ELNS1_3repE0EEENS1_30default_config_static_selectorELNS0_4arch9wavefront6targetE0EEEvSF_,"axG",@progbits,_ZN7rocprim17ROCPRIM_400000_NS6detail17trampoline_kernelINS0_14default_configENS1_22reduce_config_selectorI18summary_stats_dataIfEEEZNS1_11reduce_implILb1ES3_PS6_S9_S6_23summary_stats_binary_opIfEEE10hipError_tPvRmT1_T2_T3_mT4_P12ihipStream_tbEUlT_E1_NS1_11comp_targetILNS1_3genE0ELNS1_11target_archE4294967295ELNS1_3gpuE0ELNS1_3repE0EEENS1_30default_config_static_selectorELNS0_4arch9wavefront6targetE0EEEvSF_,comdat
.Lfunc_end9:
	.size	_ZN7rocprim17ROCPRIM_400000_NS6detail17trampoline_kernelINS0_14default_configENS1_22reduce_config_selectorI18summary_stats_dataIfEEEZNS1_11reduce_implILb1ES3_PS6_S9_S6_23summary_stats_binary_opIfEEE10hipError_tPvRmT1_T2_T3_mT4_P12ihipStream_tbEUlT_E1_NS1_11comp_targetILNS1_3genE0ELNS1_11target_archE4294967295ELNS1_3gpuE0ELNS1_3repE0EEENS1_30default_config_static_selectorELNS0_4arch9wavefront6targetE0EEEvSF_, .Lfunc_end9-_ZN7rocprim17ROCPRIM_400000_NS6detail17trampoline_kernelINS0_14default_configENS1_22reduce_config_selectorI18summary_stats_dataIfEEEZNS1_11reduce_implILb1ES3_PS6_S9_S6_23summary_stats_binary_opIfEEE10hipError_tPvRmT1_T2_T3_mT4_P12ihipStream_tbEUlT_E1_NS1_11comp_targetILNS1_3genE0ELNS1_11target_archE4294967295ELNS1_3gpuE0ELNS1_3repE0EEENS1_30default_config_static_selectorELNS0_4arch9wavefront6targetE0EEEvSF_
                                        ; -- End function
	.section	.AMDGPU.csdata,"",@progbits
; Kernel info:
; codeLenInByte = 0
; NumSgprs: 0
; NumVgprs: 0
; ScratchSize: 0
; MemoryBound: 0
; FloatMode: 240
; IeeeMode: 1
; LDSByteSize: 0 bytes/workgroup (compile time only)
; SGPRBlocks: 0
; VGPRBlocks: 0
; NumSGPRsForWavesPerEU: 1
; NumVGPRsForWavesPerEU: 1
; Occupancy: 16
; WaveLimiterHint : 0
; COMPUTE_PGM_RSRC2:SCRATCH_EN: 0
; COMPUTE_PGM_RSRC2:USER_SGPR: 15
; COMPUTE_PGM_RSRC2:TRAP_HANDLER: 0
; COMPUTE_PGM_RSRC2:TGID_X_EN: 1
; COMPUTE_PGM_RSRC2:TGID_Y_EN: 0
; COMPUTE_PGM_RSRC2:TGID_Z_EN: 0
; COMPUTE_PGM_RSRC2:TIDIG_COMP_CNT: 0
	.section	.text._ZN7rocprim17ROCPRIM_400000_NS6detail17trampoline_kernelINS0_14default_configENS1_22reduce_config_selectorI18summary_stats_dataIfEEEZNS1_11reduce_implILb1ES3_PS6_S9_S6_23summary_stats_binary_opIfEEE10hipError_tPvRmT1_T2_T3_mT4_P12ihipStream_tbEUlT_E1_NS1_11comp_targetILNS1_3genE5ELNS1_11target_archE942ELNS1_3gpuE9ELNS1_3repE0EEENS1_30default_config_static_selectorELNS0_4arch9wavefront6targetE0EEEvSF_,"axG",@progbits,_ZN7rocprim17ROCPRIM_400000_NS6detail17trampoline_kernelINS0_14default_configENS1_22reduce_config_selectorI18summary_stats_dataIfEEEZNS1_11reduce_implILb1ES3_PS6_S9_S6_23summary_stats_binary_opIfEEE10hipError_tPvRmT1_T2_T3_mT4_P12ihipStream_tbEUlT_E1_NS1_11comp_targetILNS1_3genE5ELNS1_11target_archE942ELNS1_3gpuE9ELNS1_3repE0EEENS1_30default_config_static_selectorELNS0_4arch9wavefront6targetE0EEEvSF_,comdat
	.protected	_ZN7rocprim17ROCPRIM_400000_NS6detail17trampoline_kernelINS0_14default_configENS1_22reduce_config_selectorI18summary_stats_dataIfEEEZNS1_11reduce_implILb1ES3_PS6_S9_S6_23summary_stats_binary_opIfEEE10hipError_tPvRmT1_T2_T3_mT4_P12ihipStream_tbEUlT_E1_NS1_11comp_targetILNS1_3genE5ELNS1_11target_archE942ELNS1_3gpuE9ELNS1_3repE0EEENS1_30default_config_static_selectorELNS0_4arch9wavefront6targetE0EEEvSF_ ; -- Begin function _ZN7rocprim17ROCPRIM_400000_NS6detail17trampoline_kernelINS0_14default_configENS1_22reduce_config_selectorI18summary_stats_dataIfEEEZNS1_11reduce_implILb1ES3_PS6_S9_S6_23summary_stats_binary_opIfEEE10hipError_tPvRmT1_T2_T3_mT4_P12ihipStream_tbEUlT_E1_NS1_11comp_targetILNS1_3genE5ELNS1_11target_archE942ELNS1_3gpuE9ELNS1_3repE0EEENS1_30default_config_static_selectorELNS0_4arch9wavefront6targetE0EEEvSF_
	.globl	_ZN7rocprim17ROCPRIM_400000_NS6detail17trampoline_kernelINS0_14default_configENS1_22reduce_config_selectorI18summary_stats_dataIfEEEZNS1_11reduce_implILb1ES3_PS6_S9_S6_23summary_stats_binary_opIfEEE10hipError_tPvRmT1_T2_T3_mT4_P12ihipStream_tbEUlT_E1_NS1_11comp_targetILNS1_3genE5ELNS1_11target_archE942ELNS1_3gpuE9ELNS1_3repE0EEENS1_30default_config_static_selectorELNS0_4arch9wavefront6targetE0EEEvSF_
	.p2align	8
	.type	_ZN7rocprim17ROCPRIM_400000_NS6detail17trampoline_kernelINS0_14default_configENS1_22reduce_config_selectorI18summary_stats_dataIfEEEZNS1_11reduce_implILb1ES3_PS6_S9_S6_23summary_stats_binary_opIfEEE10hipError_tPvRmT1_T2_T3_mT4_P12ihipStream_tbEUlT_E1_NS1_11comp_targetILNS1_3genE5ELNS1_11target_archE942ELNS1_3gpuE9ELNS1_3repE0EEENS1_30default_config_static_selectorELNS0_4arch9wavefront6targetE0EEEvSF_,@function
_ZN7rocprim17ROCPRIM_400000_NS6detail17trampoline_kernelINS0_14default_configENS1_22reduce_config_selectorI18summary_stats_dataIfEEEZNS1_11reduce_implILb1ES3_PS6_S9_S6_23summary_stats_binary_opIfEEE10hipError_tPvRmT1_T2_T3_mT4_P12ihipStream_tbEUlT_E1_NS1_11comp_targetILNS1_3genE5ELNS1_11target_archE942ELNS1_3gpuE9ELNS1_3repE0EEENS1_30default_config_static_selectorELNS0_4arch9wavefront6targetE0EEEvSF_: ; @_ZN7rocprim17ROCPRIM_400000_NS6detail17trampoline_kernelINS0_14default_configENS1_22reduce_config_selectorI18summary_stats_dataIfEEEZNS1_11reduce_implILb1ES3_PS6_S9_S6_23summary_stats_binary_opIfEEE10hipError_tPvRmT1_T2_T3_mT4_P12ihipStream_tbEUlT_E1_NS1_11comp_targetILNS1_3genE5ELNS1_11target_archE942ELNS1_3gpuE9ELNS1_3repE0EEENS1_30default_config_static_selectorELNS0_4arch9wavefront6targetE0EEEvSF_
; %bb.0:
	.section	.rodata,"a",@progbits
	.p2align	6, 0x0
	.amdhsa_kernel _ZN7rocprim17ROCPRIM_400000_NS6detail17trampoline_kernelINS0_14default_configENS1_22reduce_config_selectorI18summary_stats_dataIfEEEZNS1_11reduce_implILb1ES3_PS6_S9_S6_23summary_stats_binary_opIfEEE10hipError_tPvRmT1_T2_T3_mT4_P12ihipStream_tbEUlT_E1_NS1_11comp_targetILNS1_3genE5ELNS1_11target_archE942ELNS1_3gpuE9ELNS1_3repE0EEENS1_30default_config_static_selectorELNS0_4arch9wavefront6targetE0EEEvSF_
		.amdhsa_group_segment_fixed_size 0
		.amdhsa_private_segment_fixed_size 0
		.amdhsa_kernarg_size 64
		.amdhsa_user_sgpr_count 15
		.amdhsa_user_sgpr_dispatch_ptr 0
		.amdhsa_user_sgpr_queue_ptr 0
		.amdhsa_user_sgpr_kernarg_segment_ptr 1
		.amdhsa_user_sgpr_dispatch_id 0
		.amdhsa_user_sgpr_private_segment_size 0
		.amdhsa_wavefront_size32 1
		.amdhsa_uses_dynamic_stack 0
		.amdhsa_enable_private_segment 0
		.amdhsa_system_sgpr_workgroup_id_x 1
		.amdhsa_system_sgpr_workgroup_id_y 0
		.amdhsa_system_sgpr_workgroup_id_z 0
		.amdhsa_system_sgpr_workgroup_info 0
		.amdhsa_system_vgpr_workitem_id 0
		.amdhsa_next_free_vgpr 1
		.amdhsa_next_free_sgpr 1
		.amdhsa_reserve_vcc 0
		.amdhsa_float_round_mode_32 0
		.amdhsa_float_round_mode_16_64 0
		.amdhsa_float_denorm_mode_32 3
		.amdhsa_float_denorm_mode_16_64 3
		.amdhsa_dx10_clamp 1
		.amdhsa_ieee_mode 1
		.amdhsa_fp16_overflow 0
		.amdhsa_workgroup_processor_mode 1
		.amdhsa_memory_ordered 1
		.amdhsa_forward_progress 0
		.amdhsa_shared_vgpr_count 0
		.amdhsa_exception_fp_ieee_invalid_op 0
		.amdhsa_exception_fp_denorm_src 0
		.amdhsa_exception_fp_ieee_div_zero 0
		.amdhsa_exception_fp_ieee_overflow 0
		.amdhsa_exception_fp_ieee_underflow 0
		.amdhsa_exception_fp_ieee_inexact 0
		.amdhsa_exception_int_div_zero 0
	.end_amdhsa_kernel
	.section	.text._ZN7rocprim17ROCPRIM_400000_NS6detail17trampoline_kernelINS0_14default_configENS1_22reduce_config_selectorI18summary_stats_dataIfEEEZNS1_11reduce_implILb1ES3_PS6_S9_S6_23summary_stats_binary_opIfEEE10hipError_tPvRmT1_T2_T3_mT4_P12ihipStream_tbEUlT_E1_NS1_11comp_targetILNS1_3genE5ELNS1_11target_archE942ELNS1_3gpuE9ELNS1_3repE0EEENS1_30default_config_static_selectorELNS0_4arch9wavefront6targetE0EEEvSF_,"axG",@progbits,_ZN7rocprim17ROCPRIM_400000_NS6detail17trampoline_kernelINS0_14default_configENS1_22reduce_config_selectorI18summary_stats_dataIfEEEZNS1_11reduce_implILb1ES3_PS6_S9_S6_23summary_stats_binary_opIfEEE10hipError_tPvRmT1_T2_T3_mT4_P12ihipStream_tbEUlT_E1_NS1_11comp_targetILNS1_3genE5ELNS1_11target_archE942ELNS1_3gpuE9ELNS1_3repE0EEENS1_30default_config_static_selectorELNS0_4arch9wavefront6targetE0EEEvSF_,comdat
.Lfunc_end10:
	.size	_ZN7rocprim17ROCPRIM_400000_NS6detail17trampoline_kernelINS0_14default_configENS1_22reduce_config_selectorI18summary_stats_dataIfEEEZNS1_11reduce_implILb1ES3_PS6_S9_S6_23summary_stats_binary_opIfEEE10hipError_tPvRmT1_T2_T3_mT4_P12ihipStream_tbEUlT_E1_NS1_11comp_targetILNS1_3genE5ELNS1_11target_archE942ELNS1_3gpuE9ELNS1_3repE0EEENS1_30default_config_static_selectorELNS0_4arch9wavefront6targetE0EEEvSF_, .Lfunc_end10-_ZN7rocprim17ROCPRIM_400000_NS6detail17trampoline_kernelINS0_14default_configENS1_22reduce_config_selectorI18summary_stats_dataIfEEEZNS1_11reduce_implILb1ES3_PS6_S9_S6_23summary_stats_binary_opIfEEE10hipError_tPvRmT1_T2_T3_mT4_P12ihipStream_tbEUlT_E1_NS1_11comp_targetILNS1_3genE5ELNS1_11target_archE942ELNS1_3gpuE9ELNS1_3repE0EEENS1_30default_config_static_selectorELNS0_4arch9wavefront6targetE0EEEvSF_
                                        ; -- End function
	.section	.AMDGPU.csdata,"",@progbits
; Kernel info:
; codeLenInByte = 0
; NumSgprs: 0
; NumVgprs: 0
; ScratchSize: 0
; MemoryBound: 0
; FloatMode: 240
; IeeeMode: 1
; LDSByteSize: 0 bytes/workgroup (compile time only)
; SGPRBlocks: 0
; VGPRBlocks: 0
; NumSGPRsForWavesPerEU: 1
; NumVGPRsForWavesPerEU: 1
; Occupancy: 16
; WaveLimiterHint : 0
; COMPUTE_PGM_RSRC2:SCRATCH_EN: 0
; COMPUTE_PGM_RSRC2:USER_SGPR: 15
; COMPUTE_PGM_RSRC2:TRAP_HANDLER: 0
; COMPUTE_PGM_RSRC2:TGID_X_EN: 1
; COMPUTE_PGM_RSRC2:TGID_Y_EN: 0
; COMPUTE_PGM_RSRC2:TGID_Z_EN: 0
; COMPUTE_PGM_RSRC2:TIDIG_COMP_CNT: 0
	.section	.text._ZN7rocprim17ROCPRIM_400000_NS6detail17trampoline_kernelINS0_14default_configENS1_22reduce_config_selectorI18summary_stats_dataIfEEEZNS1_11reduce_implILb1ES3_PS6_S9_S6_23summary_stats_binary_opIfEEE10hipError_tPvRmT1_T2_T3_mT4_P12ihipStream_tbEUlT_E1_NS1_11comp_targetILNS1_3genE4ELNS1_11target_archE910ELNS1_3gpuE8ELNS1_3repE0EEENS1_30default_config_static_selectorELNS0_4arch9wavefront6targetE0EEEvSF_,"axG",@progbits,_ZN7rocprim17ROCPRIM_400000_NS6detail17trampoline_kernelINS0_14default_configENS1_22reduce_config_selectorI18summary_stats_dataIfEEEZNS1_11reduce_implILb1ES3_PS6_S9_S6_23summary_stats_binary_opIfEEE10hipError_tPvRmT1_T2_T3_mT4_P12ihipStream_tbEUlT_E1_NS1_11comp_targetILNS1_3genE4ELNS1_11target_archE910ELNS1_3gpuE8ELNS1_3repE0EEENS1_30default_config_static_selectorELNS0_4arch9wavefront6targetE0EEEvSF_,comdat
	.protected	_ZN7rocprim17ROCPRIM_400000_NS6detail17trampoline_kernelINS0_14default_configENS1_22reduce_config_selectorI18summary_stats_dataIfEEEZNS1_11reduce_implILb1ES3_PS6_S9_S6_23summary_stats_binary_opIfEEE10hipError_tPvRmT1_T2_T3_mT4_P12ihipStream_tbEUlT_E1_NS1_11comp_targetILNS1_3genE4ELNS1_11target_archE910ELNS1_3gpuE8ELNS1_3repE0EEENS1_30default_config_static_selectorELNS0_4arch9wavefront6targetE0EEEvSF_ ; -- Begin function _ZN7rocprim17ROCPRIM_400000_NS6detail17trampoline_kernelINS0_14default_configENS1_22reduce_config_selectorI18summary_stats_dataIfEEEZNS1_11reduce_implILb1ES3_PS6_S9_S6_23summary_stats_binary_opIfEEE10hipError_tPvRmT1_T2_T3_mT4_P12ihipStream_tbEUlT_E1_NS1_11comp_targetILNS1_3genE4ELNS1_11target_archE910ELNS1_3gpuE8ELNS1_3repE0EEENS1_30default_config_static_selectorELNS0_4arch9wavefront6targetE0EEEvSF_
	.globl	_ZN7rocprim17ROCPRIM_400000_NS6detail17trampoline_kernelINS0_14default_configENS1_22reduce_config_selectorI18summary_stats_dataIfEEEZNS1_11reduce_implILb1ES3_PS6_S9_S6_23summary_stats_binary_opIfEEE10hipError_tPvRmT1_T2_T3_mT4_P12ihipStream_tbEUlT_E1_NS1_11comp_targetILNS1_3genE4ELNS1_11target_archE910ELNS1_3gpuE8ELNS1_3repE0EEENS1_30default_config_static_selectorELNS0_4arch9wavefront6targetE0EEEvSF_
	.p2align	8
	.type	_ZN7rocprim17ROCPRIM_400000_NS6detail17trampoline_kernelINS0_14default_configENS1_22reduce_config_selectorI18summary_stats_dataIfEEEZNS1_11reduce_implILb1ES3_PS6_S9_S6_23summary_stats_binary_opIfEEE10hipError_tPvRmT1_T2_T3_mT4_P12ihipStream_tbEUlT_E1_NS1_11comp_targetILNS1_3genE4ELNS1_11target_archE910ELNS1_3gpuE8ELNS1_3repE0EEENS1_30default_config_static_selectorELNS0_4arch9wavefront6targetE0EEEvSF_,@function
_ZN7rocprim17ROCPRIM_400000_NS6detail17trampoline_kernelINS0_14default_configENS1_22reduce_config_selectorI18summary_stats_dataIfEEEZNS1_11reduce_implILb1ES3_PS6_S9_S6_23summary_stats_binary_opIfEEE10hipError_tPvRmT1_T2_T3_mT4_P12ihipStream_tbEUlT_E1_NS1_11comp_targetILNS1_3genE4ELNS1_11target_archE910ELNS1_3gpuE8ELNS1_3repE0EEENS1_30default_config_static_selectorELNS0_4arch9wavefront6targetE0EEEvSF_: ; @_ZN7rocprim17ROCPRIM_400000_NS6detail17trampoline_kernelINS0_14default_configENS1_22reduce_config_selectorI18summary_stats_dataIfEEEZNS1_11reduce_implILb1ES3_PS6_S9_S6_23summary_stats_binary_opIfEEE10hipError_tPvRmT1_T2_T3_mT4_P12ihipStream_tbEUlT_E1_NS1_11comp_targetILNS1_3genE4ELNS1_11target_archE910ELNS1_3gpuE8ELNS1_3repE0EEENS1_30default_config_static_selectorELNS0_4arch9wavefront6targetE0EEEvSF_
; %bb.0:
	.section	.rodata,"a",@progbits
	.p2align	6, 0x0
	.amdhsa_kernel _ZN7rocprim17ROCPRIM_400000_NS6detail17trampoline_kernelINS0_14default_configENS1_22reduce_config_selectorI18summary_stats_dataIfEEEZNS1_11reduce_implILb1ES3_PS6_S9_S6_23summary_stats_binary_opIfEEE10hipError_tPvRmT1_T2_T3_mT4_P12ihipStream_tbEUlT_E1_NS1_11comp_targetILNS1_3genE4ELNS1_11target_archE910ELNS1_3gpuE8ELNS1_3repE0EEENS1_30default_config_static_selectorELNS0_4arch9wavefront6targetE0EEEvSF_
		.amdhsa_group_segment_fixed_size 0
		.amdhsa_private_segment_fixed_size 0
		.amdhsa_kernarg_size 64
		.amdhsa_user_sgpr_count 15
		.amdhsa_user_sgpr_dispatch_ptr 0
		.amdhsa_user_sgpr_queue_ptr 0
		.amdhsa_user_sgpr_kernarg_segment_ptr 1
		.amdhsa_user_sgpr_dispatch_id 0
		.amdhsa_user_sgpr_private_segment_size 0
		.amdhsa_wavefront_size32 1
		.amdhsa_uses_dynamic_stack 0
		.amdhsa_enable_private_segment 0
		.amdhsa_system_sgpr_workgroup_id_x 1
		.amdhsa_system_sgpr_workgroup_id_y 0
		.amdhsa_system_sgpr_workgroup_id_z 0
		.amdhsa_system_sgpr_workgroup_info 0
		.amdhsa_system_vgpr_workitem_id 0
		.amdhsa_next_free_vgpr 1
		.amdhsa_next_free_sgpr 1
		.amdhsa_reserve_vcc 0
		.amdhsa_float_round_mode_32 0
		.amdhsa_float_round_mode_16_64 0
		.amdhsa_float_denorm_mode_32 3
		.amdhsa_float_denorm_mode_16_64 3
		.amdhsa_dx10_clamp 1
		.amdhsa_ieee_mode 1
		.amdhsa_fp16_overflow 0
		.amdhsa_workgroup_processor_mode 1
		.amdhsa_memory_ordered 1
		.amdhsa_forward_progress 0
		.amdhsa_shared_vgpr_count 0
		.amdhsa_exception_fp_ieee_invalid_op 0
		.amdhsa_exception_fp_denorm_src 0
		.amdhsa_exception_fp_ieee_div_zero 0
		.amdhsa_exception_fp_ieee_overflow 0
		.amdhsa_exception_fp_ieee_underflow 0
		.amdhsa_exception_fp_ieee_inexact 0
		.amdhsa_exception_int_div_zero 0
	.end_amdhsa_kernel
	.section	.text._ZN7rocprim17ROCPRIM_400000_NS6detail17trampoline_kernelINS0_14default_configENS1_22reduce_config_selectorI18summary_stats_dataIfEEEZNS1_11reduce_implILb1ES3_PS6_S9_S6_23summary_stats_binary_opIfEEE10hipError_tPvRmT1_T2_T3_mT4_P12ihipStream_tbEUlT_E1_NS1_11comp_targetILNS1_3genE4ELNS1_11target_archE910ELNS1_3gpuE8ELNS1_3repE0EEENS1_30default_config_static_selectorELNS0_4arch9wavefront6targetE0EEEvSF_,"axG",@progbits,_ZN7rocprim17ROCPRIM_400000_NS6detail17trampoline_kernelINS0_14default_configENS1_22reduce_config_selectorI18summary_stats_dataIfEEEZNS1_11reduce_implILb1ES3_PS6_S9_S6_23summary_stats_binary_opIfEEE10hipError_tPvRmT1_T2_T3_mT4_P12ihipStream_tbEUlT_E1_NS1_11comp_targetILNS1_3genE4ELNS1_11target_archE910ELNS1_3gpuE8ELNS1_3repE0EEENS1_30default_config_static_selectorELNS0_4arch9wavefront6targetE0EEEvSF_,comdat
.Lfunc_end11:
	.size	_ZN7rocprim17ROCPRIM_400000_NS6detail17trampoline_kernelINS0_14default_configENS1_22reduce_config_selectorI18summary_stats_dataIfEEEZNS1_11reduce_implILb1ES3_PS6_S9_S6_23summary_stats_binary_opIfEEE10hipError_tPvRmT1_T2_T3_mT4_P12ihipStream_tbEUlT_E1_NS1_11comp_targetILNS1_3genE4ELNS1_11target_archE910ELNS1_3gpuE8ELNS1_3repE0EEENS1_30default_config_static_selectorELNS0_4arch9wavefront6targetE0EEEvSF_, .Lfunc_end11-_ZN7rocprim17ROCPRIM_400000_NS6detail17trampoline_kernelINS0_14default_configENS1_22reduce_config_selectorI18summary_stats_dataIfEEEZNS1_11reduce_implILb1ES3_PS6_S9_S6_23summary_stats_binary_opIfEEE10hipError_tPvRmT1_T2_T3_mT4_P12ihipStream_tbEUlT_E1_NS1_11comp_targetILNS1_3genE4ELNS1_11target_archE910ELNS1_3gpuE8ELNS1_3repE0EEENS1_30default_config_static_selectorELNS0_4arch9wavefront6targetE0EEEvSF_
                                        ; -- End function
	.section	.AMDGPU.csdata,"",@progbits
; Kernel info:
; codeLenInByte = 0
; NumSgprs: 0
; NumVgprs: 0
; ScratchSize: 0
; MemoryBound: 0
; FloatMode: 240
; IeeeMode: 1
; LDSByteSize: 0 bytes/workgroup (compile time only)
; SGPRBlocks: 0
; VGPRBlocks: 0
; NumSGPRsForWavesPerEU: 1
; NumVGPRsForWavesPerEU: 1
; Occupancy: 16
; WaveLimiterHint : 0
; COMPUTE_PGM_RSRC2:SCRATCH_EN: 0
; COMPUTE_PGM_RSRC2:USER_SGPR: 15
; COMPUTE_PGM_RSRC2:TRAP_HANDLER: 0
; COMPUTE_PGM_RSRC2:TGID_X_EN: 1
; COMPUTE_PGM_RSRC2:TGID_Y_EN: 0
; COMPUTE_PGM_RSRC2:TGID_Z_EN: 0
; COMPUTE_PGM_RSRC2:TIDIG_COMP_CNT: 0
	.section	.text._ZN7rocprim17ROCPRIM_400000_NS6detail17trampoline_kernelINS0_14default_configENS1_22reduce_config_selectorI18summary_stats_dataIfEEEZNS1_11reduce_implILb1ES3_PS6_S9_S6_23summary_stats_binary_opIfEEE10hipError_tPvRmT1_T2_T3_mT4_P12ihipStream_tbEUlT_E1_NS1_11comp_targetILNS1_3genE3ELNS1_11target_archE908ELNS1_3gpuE7ELNS1_3repE0EEENS1_30default_config_static_selectorELNS0_4arch9wavefront6targetE0EEEvSF_,"axG",@progbits,_ZN7rocprim17ROCPRIM_400000_NS6detail17trampoline_kernelINS0_14default_configENS1_22reduce_config_selectorI18summary_stats_dataIfEEEZNS1_11reduce_implILb1ES3_PS6_S9_S6_23summary_stats_binary_opIfEEE10hipError_tPvRmT1_T2_T3_mT4_P12ihipStream_tbEUlT_E1_NS1_11comp_targetILNS1_3genE3ELNS1_11target_archE908ELNS1_3gpuE7ELNS1_3repE0EEENS1_30default_config_static_selectorELNS0_4arch9wavefront6targetE0EEEvSF_,comdat
	.protected	_ZN7rocprim17ROCPRIM_400000_NS6detail17trampoline_kernelINS0_14default_configENS1_22reduce_config_selectorI18summary_stats_dataIfEEEZNS1_11reduce_implILb1ES3_PS6_S9_S6_23summary_stats_binary_opIfEEE10hipError_tPvRmT1_T2_T3_mT4_P12ihipStream_tbEUlT_E1_NS1_11comp_targetILNS1_3genE3ELNS1_11target_archE908ELNS1_3gpuE7ELNS1_3repE0EEENS1_30default_config_static_selectorELNS0_4arch9wavefront6targetE0EEEvSF_ ; -- Begin function _ZN7rocprim17ROCPRIM_400000_NS6detail17trampoline_kernelINS0_14default_configENS1_22reduce_config_selectorI18summary_stats_dataIfEEEZNS1_11reduce_implILb1ES3_PS6_S9_S6_23summary_stats_binary_opIfEEE10hipError_tPvRmT1_T2_T3_mT4_P12ihipStream_tbEUlT_E1_NS1_11comp_targetILNS1_3genE3ELNS1_11target_archE908ELNS1_3gpuE7ELNS1_3repE0EEENS1_30default_config_static_selectorELNS0_4arch9wavefront6targetE0EEEvSF_
	.globl	_ZN7rocprim17ROCPRIM_400000_NS6detail17trampoline_kernelINS0_14default_configENS1_22reduce_config_selectorI18summary_stats_dataIfEEEZNS1_11reduce_implILb1ES3_PS6_S9_S6_23summary_stats_binary_opIfEEE10hipError_tPvRmT1_T2_T3_mT4_P12ihipStream_tbEUlT_E1_NS1_11comp_targetILNS1_3genE3ELNS1_11target_archE908ELNS1_3gpuE7ELNS1_3repE0EEENS1_30default_config_static_selectorELNS0_4arch9wavefront6targetE0EEEvSF_
	.p2align	8
	.type	_ZN7rocprim17ROCPRIM_400000_NS6detail17trampoline_kernelINS0_14default_configENS1_22reduce_config_selectorI18summary_stats_dataIfEEEZNS1_11reduce_implILb1ES3_PS6_S9_S6_23summary_stats_binary_opIfEEE10hipError_tPvRmT1_T2_T3_mT4_P12ihipStream_tbEUlT_E1_NS1_11comp_targetILNS1_3genE3ELNS1_11target_archE908ELNS1_3gpuE7ELNS1_3repE0EEENS1_30default_config_static_selectorELNS0_4arch9wavefront6targetE0EEEvSF_,@function
_ZN7rocprim17ROCPRIM_400000_NS6detail17trampoline_kernelINS0_14default_configENS1_22reduce_config_selectorI18summary_stats_dataIfEEEZNS1_11reduce_implILb1ES3_PS6_S9_S6_23summary_stats_binary_opIfEEE10hipError_tPvRmT1_T2_T3_mT4_P12ihipStream_tbEUlT_E1_NS1_11comp_targetILNS1_3genE3ELNS1_11target_archE908ELNS1_3gpuE7ELNS1_3repE0EEENS1_30default_config_static_selectorELNS0_4arch9wavefront6targetE0EEEvSF_: ; @_ZN7rocprim17ROCPRIM_400000_NS6detail17trampoline_kernelINS0_14default_configENS1_22reduce_config_selectorI18summary_stats_dataIfEEEZNS1_11reduce_implILb1ES3_PS6_S9_S6_23summary_stats_binary_opIfEEE10hipError_tPvRmT1_T2_T3_mT4_P12ihipStream_tbEUlT_E1_NS1_11comp_targetILNS1_3genE3ELNS1_11target_archE908ELNS1_3gpuE7ELNS1_3repE0EEENS1_30default_config_static_selectorELNS0_4arch9wavefront6targetE0EEEvSF_
; %bb.0:
	.section	.rodata,"a",@progbits
	.p2align	6, 0x0
	.amdhsa_kernel _ZN7rocprim17ROCPRIM_400000_NS6detail17trampoline_kernelINS0_14default_configENS1_22reduce_config_selectorI18summary_stats_dataIfEEEZNS1_11reduce_implILb1ES3_PS6_S9_S6_23summary_stats_binary_opIfEEE10hipError_tPvRmT1_T2_T3_mT4_P12ihipStream_tbEUlT_E1_NS1_11comp_targetILNS1_3genE3ELNS1_11target_archE908ELNS1_3gpuE7ELNS1_3repE0EEENS1_30default_config_static_selectorELNS0_4arch9wavefront6targetE0EEEvSF_
		.amdhsa_group_segment_fixed_size 0
		.amdhsa_private_segment_fixed_size 0
		.amdhsa_kernarg_size 64
		.amdhsa_user_sgpr_count 15
		.amdhsa_user_sgpr_dispatch_ptr 0
		.amdhsa_user_sgpr_queue_ptr 0
		.amdhsa_user_sgpr_kernarg_segment_ptr 1
		.amdhsa_user_sgpr_dispatch_id 0
		.amdhsa_user_sgpr_private_segment_size 0
		.amdhsa_wavefront_size32 1
		.amdhsa_uses_dynamic_stack 0
		.amdhsa_enable_private_segment 0
		.amdhsa_system_sgpr_workgroup_id_x 1
		.amdhsa_system_sgpr_workgroup_id_y 0
		.amdhsa_system_sgpr_workgroup_id_z 0
		.amdhsa_system_sgpr_workgroup_info 0
		.amdhsa_system_vgpr_workitem_id 0
		.amdhsa_next_free_vgpr 1
		.amdhsa_next_free_sgpr 1
		.amdhsa_reserve_vcc 0
		.amdhsa_float_round_mode_32 0
		.amdhsa_float_round_mode_16_64 0
		.amdhsa_float_denorm_mode_32 3
		.amdhsa_float_denorm_mode_16_64 3
		.amdhsa_dx10_clamp 1
		.amdhsa_ieee_mode 1
		.amdhsa_fp16_overflow 0
		.amdhsa_workgroup_processor_mode 1
		.amdhsa_memory_ordered 1
		.amdhsa_forward_progress 0
		.amdhsa_shared_vgpr_count 0
		.amdhsa_exception_fp_ieee_invalid_op 0
		.amdhsa_exception_fp_denorm_src 0
		.amdhsa_exception_fp_ieee_div_zero 0
		.amdhsa_exception_fp_ieee_overflow 0
		.amdhsa_exception_fp_ieee_underflow 0
		.amdhsa_exception_fp_ieee_inexact 0
		.amdhsa_exception_int_div_zero 0
	.end_amdhsa_kernel
	.section	.text._ZN7rocprim17ROCPRIM_400000_NS6detail17trampoline_kernelINS0_14default_configENS1_22reduce_config_selectorI18summary_stats_dataIfEEEZNS1_11reduce_implILb1ES3_PS6_S9_S6_23summary_stats_binary_opIfEEE10hipError_tPvRmT1_T2_T3_mT4_P12ihipStream_tbEUlT_E1_NS1_11comp_targetILNS1_3genE3ELNS1_11target_archE908ELNS1_3gpuE7ELNS1_3repE0EEENS1_30default_config_static_selectorELNS0_4arch9wavefront6targetE0EEEvSF_,"axG",@progbits,_ZN7rocprim17ROCPRIM_400000_NS6detail17trampoline_kernelINS0_14default_configENS1_22reduce_config_selectorI18summary_stats_dataIfEEEZNS1_11reduce_implILb1ES3_PS6_S9_S6_23summary_stats_binary_opIfEEE10hipError_tPvRmT1_T2_T3_mT4_P12ihipStream_tbEUlT_E1_NS1_11comp_targetILNS1_3genE3ELNS1_11target_archE908ELNS1_3gpuE7ELNS1_3repE0EEENS1_30default_config_static_selectorELNS0_4arch9wavefront6targetE0EEEvSF_,comdat
.Lfunc_end12:
	.size	_ZN7rocprim17ROCPRIM_400000_NS6detail17trampoline_kernelINS0_14default_configENS1_22reduce_config_selectorI18summary_stats_dataIfEEEZNS1_11reduce_implILb1ES3_PS6_S9_S6_23summary_stats_binary_opIfEEE10hipError_tPvRmT1_T2_T3_mT4_P12ihipStream_tbEUlT_E1_NS1_11comp_targetILNS1_3genE3ELNS1_11target_archE908ELNS1_3gpuE7ELNS1_3repE0EEENS1_30default_config_static_selectorELNS0_4arch9wavefront6targetE0EEEvSF_, .Lfunc_end12-_ZN7rocprim17ROCPRIM_400000_NS6detail17trampoline_kernelINS0_14default_configENS1_22reduce_config_selectorI18summary_stats_dataIfEEEZNS1_11reduce_implILb1ES3_PS6_S9_S6_23summary_stats_binary_opIfEEE10hipError_tPvRmT1_T2_T3_mT4_P12ihipStream_tbEUlT_E1_NS1_11comp_targetILNS1_3genE3ELNS1_11target_archE908ELNS1_3gpuE7ELNS1_3repE0EEENS1_30default_config_static_selectorELNS0_4arch9wavefront6targetE0EEEvSF_
                                        ; -- End function
	.section	.AMDGPU.csdata,"",@progbits
; Kernel info:
; codeLenInByte = 0
; NumSgprs: 0
; NumVgprs: 0
; ScratchSize: 0
; MemoryBound: 0
; FloatMode: 240
; IeeeMode: 1
; LDSByteSize: 0 bytes/workgroup (compile time only)
; SGPRBlocks: 0
; VGPRBlocks: 0
; NumSGPRsForWavesPerEU: 1
; NumVGPRsForWavesPerEU: 1
; Occupancy: 16
; WaveLimiterHint : 0
; COMPUTE_PGM_RSRC2:SCRATCH_EN: 0
; COMPUTE_PGM_RSRC2:USER_SGPR: 15
; COMPUTE_PGM_RSRC2:TRAP_HANDLER: 0
; COMPUTE_PGM_RSRC2:TGID_X_EN: 1
; COMPUTE_PGM_RSRC2:TGID_Y_EN: 0
; COMPUTE_PGM_RSRC2:TGID_Z_EN: 0
; COMPUTE_PGM_RSRC2:TIDIG_COMP_CNT: 0
	.section	.text._ZN7rocprim17ROCPRIM_400000_NS6detail17trampoline_kernelINS0_14default_configENS1_22reduce_config_selectorI18summary_stats_dataIfEEEZNS1_11reduce_implILb1ES3_PS6_S9_S6_23summary_stats_binary_opIfEEE10hipError_tPvRmT1_T2_T3_mT4_P12ihipStream_tbEUlT_E1_NS1_11comp_targetILNS1_3genE2ELNS1_11target_archE906ELNS1_3gpuE6ELNS1_3repE0EEENS1_30default_config_static_selectorELNS0_4arch9wavefront6targetE0EEEvSF_,"axG",@progbits,_ZN7rocprim17ROCPRIM_400000_NS6detail17trampoline_kernelINS0_14default_configENS1_22reduce_config_selectorI18summary_stats_dataIfEEEZNS1_11reduce_implILb1ES3_PS6_S9_S6_23summary_stats_binary_opIfEEE10hipError_tPvRmT1_T2_T3_mT4_P12ihipStream_tbEUlT_E1_NS1_11comp_targetILNS1_3genE2ELNS1_11target_archE906ELNS1_3gpuE6ELNS1_3repE0EEENS1_30default_config_static_selectorELNS0_4arch9wavefront6targetE0EEEvSF_,comdat
	.protected	_ZN7rocprim17ROCPRIM_400000_NS6detail17trampoline_kernelINS0_14default_configENS1_22reduce_config_selectorI18summary_stats_dataIfEEEZNS1_11reduce_implILb1ES3_PS6_S9_S6_23summary_stats_binary_opIfEEE10hipError_tPvRmT1_T2_T3_mT4_P12ihipStream_tbEUlT_E1_NS1_11comp_targetILNS1_3genE2ELNS1_11target_archE906ELNS1_3gpuE6ELNS1_3repE0EEENS1_30default_config_static_selectorELNS0_4arch9wavefront6targetE0EEEvSF_ ; -- Begin function _ZN7rocprim17ROCPRIM_400000_NS6detail17trampoline_kernelINS0_14default_configENS1_22reduce_config_selectorI18summary_stats_dataIfEEEZNS1_11reduce_implILb1ES3_PS6_S9_S6_23summary_stats_binary_opIfEEE10hipError_tPvRmT1_T2_T3_mT4_P12ihipStream_tbEUlT_E1_NS1_11comp_targetILNS1_3genE2ELNS1_11target_archE906ELNS1_3gpuE6ELNS1_3repE0EEENS1_30default_config_static_selectorELNS0_4arch9wavefront6targetE0EEEvSF_
	.globl	_ZN7rocprim17ROCPRIM_400000_NS6detail17trampoline_kernelINS0_14default_configENS1_22reduce_config_selectorI18summary_stats_dataIfEEEZNS1_11reduce_implILb1ES3_PS6_S9_S6_23summary_stats_binary_opIfEEE10hipError_tPvRmT1_T2_T3_mT4_P12ihipStream_tbEUlT_E1_NS1_11comp_targetILNS1_3genE2ELNS1_11target_archE906ELNS1_3gpuE6ELNS1_3repE0EEENS1_30default_config_static_selectorELNS0_4arch9wavefront6targetE0EEEvSF_
	.p2align	8
	.type	_ZN7rocprim17ROCPRIM_400000_NS6detail17trampoline_kernelINS0_14default_configENS1_22reduce_config_selectorI18summary_stats_dataIfEEEZNS1_11reduce_implILb1ES3_PS6_S9_S6_23summary_stats_binary_opIfEEE10hipError_tPvRmT1_T2_T3_mT4_P12ihipStream_tbEUlT_E1_NS1_11comp_targetILNS1_3genE2ELNS1_11target_archE906ELNS1_3gpuE6ELNS1_3repE0EEENS1_30default_config_static_selectorELNS0_4arch9wavefront6targetE0EEEvSF_,@function
_ZN7rocprim17ROCPRIM_400000_NS6detail17trampoline_kernelINS0_14default_configENS1_22reduce_config_selectorI18summary_stats_dataIfEEEZNS1_11reduce_implILb1ES3_PS6_S9_S6_23summary_stats_binary_opIfEEE10hipError_tPvRmT1_T2_T3_mT4_P12ihipStream_tbEUlT_E1_NS1_11comp_targetILNS1_3genE2ELNS1_11target_archE906ELNS1_3gpuE6ELNS1_3repE0EEENS1_30default_config_static_selectorELNS0_4arch9wavefront6targetE0EEEvSF_: ; @_ZN7rocprim17ROCPRIM_400000_NS6detail17trampoline_kernelINS0_14default_configENS1_22reduce_config_selectorI18summary_stats_dataIfEEEZNS1_11reduce_implILb1ES3_PS6_S9_S6_23summary_stats_binary_opIfEEE10hipError_tPvRmT1_T2_T3_mT4_P12ihipStream_tbEUlT_E1_NS1_11comp_targetILNS1_3genE2ELNS1_11target_archE906ELNS1_3gpuE6ELNS1_3repE0EEENS1_30default_config_static_selectorELNS0_4arch9wavefront6targetE0EEEvSF_
; %bb.0:
	.section	.rodata,"a",@progbits
	.p2align	6, 0x0
	.amdhsa_kernel _ZN7rocprim17ROCPRIM_400000_NS6detail17trampoline_kernelINS0_14default_configENS1_22reduce_config_selectorI18summary_stats_dataIfEEEZNS1_11reduce_implILb1ES3_PS6_S9_S6_23summary_stats_binary_opIfEEE10hipError_tPvRmT1_T2_T3_mT4_P12ihipStream_tbEUlT_E1_NS1_11comp_targetILNS1_3genE2ELNS1_11target_archE906ELNS1_3gpuE6ELNS1_3repE0EEENS1_30default_config_static_selectorELNS0_4arch9wavefront6targetE0EEEvSF_
		.amdhsa_group_segment_fixed_size 0
		.amdhsa_private_segment_fixed_size 0
		.amdhsa_kernarg_size 64
		.amdhsa_user_sgpr_count 15
		.amdhsa_user_sgpr_dispatch_ptr 0
		.amdhsa_user_sgpr_queue_ptr 0
		.amdhsa_user_sgpr_kernarg_segment_ptr 1
		.amdhsa_user_sgpr_dispatch_id 0
		.amdhsa_user_sgpr_private_segment_size 0
		.amdhsa_wavefront_size32 1
		.amdhsa_uses_dynamic_stack 0
		.amdhsa_enable_private_segment 0
		.amdhsa_system_sgpr_workgroup_id_x 1
		.amdhsa_system_sgpr_workgroup_id_y 0
		.amdhsa_system_sgpr_workgroup_id_z 0
		.amdhsa_system_sgpr_workgroup_info 0
		.amdhsa_system_vgpr_workitem_id 0
		.amdhsa_next_free_vgpr 1
		.amdhsa_next_free_sgpr 1
		.amdhsa_reserve_vcc 0
		.amdhsa_float_round_mode_32 0
		.amdhsa_float_round_mode_16_64 0
		.amdhsa_float_denorm_mode_32 3
		.amdhsa_float_denorm_mode_16_64 3
		.amdhsa_dx10_clamp 1
		.amdhsa_ieee_mode 1
		.amdhsa_fp16_overflow 0
		.amdhsa_workgroup_processor_mode 1
		.amdhsa_memory_ordered 1
		.amdhsa_forward_progress 0
		.amdhsa_shared_vgpr_count 0
		.amdhsa_exception_fp_ieee_invalid_op 0
		.amdhsa_exception_fp_denorm_src 0
		.amdhsa_exception_fp_ieee_div_zero 0
		.amdhsa_exception_fp_ieee_overflow 0
		.amdhsa_exception_fp_ieee_underflow 0
		.amdhsa_exception_fp_ieee_inexact 0
		.amdhsa_exception_int_div_zero 0
	.end_amdhsa_kernel
	.section	.text._ZN7rocprim17ROCPRIM_400000_NS6detail17trampoline_kernelINS0_14default_configENS1_22reduce_config_selectorI18summary_stats_dataIfEEEZNS1_11reduce_implILb1ES3_PS6_S9_S6_23summary_stats_binary_opIfEEE10hipError_tPvRmT1_T2_T3_mT4_P12ihipStream_tbEUlT_E1_NS1_11comp_targetILNS1_3genE2ELNS1_11target_archE906ELNS1_3gpuE6ELNS1_3repE0EEENS1_30default_config_static_selectorELNS0_4arch9wavefront6targetE0EEEvSF_,"axG",@progbits,_ZN7rocprim17ROCPRIM_400000_NS6detail17trampoline_kernelINS0_14default_configENS1_22reduce_config_selectorI18summary_stats_dataIfEEEZNS1_11reduce_implILb1ES3_PS6_S9_S6_23summary_stats_binary_opIfEEE10hipError_tPvRmT1_T2_T3_mT4_P12ihipStream_tbEUlT_E1_NS1_11comp_targetILNS1_3genE2ELNS1_11target_archE906ELNS1_3gpuE6ELNS1_3repE0EEENS1_30default_config_static_selectorELNS0_4arch9wavefront6targetE0EEEvSF_,comdat
.Lfunc_end13:
	.size	_ZN7rocprim17ROCPRIM_400000_NS6detail17trampoline_kernelINS0_14default_configENS1_22reduce_config_selectorI18summary_stats_dataIfEEEZNS1_11reduce_implILb1ES3_PS6_S9_S6_23summary_stats_binary_opIfEEE10hipError_tPvRmT1_T2_T3_mT4_P12ihipStream_tbEUlT_E1_NS1_11comp_targetILNS1_3genE2ELNS1_11target_archE906ELNS1_3gpuE6ELNS1_3repE0EEENS1_30default_config_static_selectorELNS0_4arch9wavefront6targetE0EEEvSF_, .Lfunc_end13-_ZN7rocprim17ROCPRIM_400000_NS6detail17trampoline_kernelINS0_14default_configENS1_22reduce_config_selectorI18summary_stats_dataIfEEEZNS1_11reduce_implILb1ES3_PS6_S9_S6_23summary_stats_binary_opIfEEE10hipError_tPvRmT1_T2_T3_mT4_P12ihipStream_tbEUlT_E1_NS1_11comp_targetILNS1_3genE2ELNS1_11target_archE906ELNS1_3gpuE6ELNS1_3repE0EEENS1_30default_config_static_selectorELNS0_4arch9wavefront6targetE0EEEvSF_
                                        ; -- End function
	.section	.AMDGPU.csdata,"",@progbits
; Kernel info:
; codeLenInByte = 0
; NumSgprs: 0
; NumVgprs: 0
; ScratchSize: 0
; MemoryBound: 0
; FloatMode: 240
; IeeeMode: 1
; LDSByteSize: 0 bytes/workgroup (compile time only)
; SGPRBlocks: 0
; VGPRBlocks: 0
; NumSGPRsForWavesPerEU: 1
; NumVGPRsForWavesPerEU: 1
; Occupancy: 16
; WaveLimiterHint : 0
; COMPUTE_PGM_RSRC2:SCRATCH_EN: 0
; COMPUTE_PGM_RSRC2:USER_SGPR: 15
; COMPUTE_PGM_RSRC2:TRAP_HANDLER: 0
; COMPUTE_PGM_RSRC2:TGID_X_EN: 1
; COMPUTE_PGM_RSRC2:TGID_Y_EN: 0
; COMPUTE_PGM_RSRC2:TGID_Z_EN: 0
; COMPUTE_PGM_RSRC2:TIDIG_COMP_CNT: 0
	.section	.text._ZN7rocprim17ROCPRIM_400000_NS6detail17trampoline_kernelINS0_14default_configENS1_22reduce_config_selectorI18summary_stats_dataIfEEEZNS1_11reduce_implILb1ES3_PS6_S9_S6_23summary_stats_binary_opIfEEE10hipError_tPvRmT1_T2_T3_mT4_P12ihipStream_tbEUlT_E1_NS1_11comp_targetILNS1_3genE10ELNS1_11target_archE1201ELNS1_3gpuE5ELNS1_3repE0EEENS1_30default_config_static_selectorELNS0_4arch9wavefront6targetE0EEEvSF_,"axG",@progbits,_ZN7rocprim17ROCPRIM_400000_NS6detail17trampoline_kernelINS0_14default_configENS1_22reduce_config_selectorI18summary_stats_dataIfEEEZNS1_11reduce_implILb1ES3_PS6_S9_S6_23summary_stats_binary_opIfEEE10hipError_tPvRmT1_T2_T3_mT4_P12ihipStream_tbEUlT_E1_NS1_11comp_targetILNS1_3genE10ELNS1_11target_archE1201ELNS1_3gpuE5ELNS1_3repE0EEENS1_30default_config_static_selectorELNS0_4arch9wavefront6targetE0EEEvSF_,comdat
	.protected	_ZN7rocprim17ROCPRIM_400000_NS6detail17trampoline_kernelINS0_14default_configENS1_22reduce_config_selectorI18summary_stats_dataIfEEEZNS1_11reduce_implILb1ES3_PS6_S9_S6_23summary_stats_binary_opIfEEE10hipError_tPvRmT1_T2_T3_mT4_P12ihipStream_tbEUlT_E1_NS1_11comp_targetILNS1_3genE10ELNS1_11target_archE1201ELNS1_3gpuE5ELNS1_3repE0EEENS1_30default_config_static_selectorELNS0_4arch9wavefront6targetE0EEEvSF_ ; -- Begin function _ZN7rocprim17ROCPRIM_400000_NS6detail17trampoline_kernelINS0_14default_configENS1_22reduce_config_selectorI18summary_stats_dataIfEEEZNS1_11reduce_implILb1ES3_PS6_S9_S6_23summary_stats_binary_opIfEEE10hipError_tPvRmT1_T2_T3_mT4_P12ihipStream_tbEUlT_E1_NS1_11comp_targetILNS1_3genE10ELNS1_11target_archE1201ELNS1_3gpuE5ELNS1_3repE0EEENS1_30default_config_static_selectorELNS0_4arch9wavefront6targetE0EEEvSF_
	.globl	_ZN7rocprim17ROCPRIM_400000_NS6detail17trampoline_kernelINS0_14default_configENS1_22reduce_config_selectorI18summary_stats_dataIfEEEZNS1_11reduce_implILb1ES3_PS6_S9_S6_23summary_stats_binary_opIfEEE10hipError_tPvRmT1_T2_T3_mT4_P12ihipStream_tbEUlT_E1_NS1_11comp_targetILNS1_3genE10ELNS1_11target_archE1201ELNS1_3gpuE5ELNS1_3repE0EEENS1_30default_config_static_selectorELNS0_4arch9wavefront6targetE0EEEvSF_
	.p2align	8
	.type	_ZN7rocprim17ROCPRIM_400000_NS6detail17trampoline_kernelINS0_14default_configENS1_22reduce_config_selectorI18summary_stats_dataIfEEEZNS1_11reduce_implILb1ES3_PS6_S9_S6_23summary_stats_binary_opIfEEE10hipError_tPvRmT1_T2_T3_mT4_P12ihipStream_tbEUlT_E1_NS1_11comp_targetILNS1_3genE10ELNS1_11target_archE1201ELNS1_3gpuE5ELNS1_3repE0EEENS1_30default_config_static_selectorELNS0_4arch9wavefront6targetE0EEEvSF_,@function
_ZN7rocprim17ROCPRIM_400000_NS6detail17trampoline_kernelINS0_14default_configENS1_22reduce_config_selectorI18summary_stats_dataIfEEEZNS1_11reduce_implILb1ES3_PS6_S9_S6_23summary_stats_binary_opIfEEE10hipError_tPvRmT1_T2_T3_mT4_P12ihipStream_tbEUlT_E1_NS1_11comp_targetILNS1_3genE10ELNS1_11target_archE1201ELNS1_3gpuE5ELNS1_3repE0EEENS1_30default_config_static_selectorELNS0_4arch9wavefront6targetE0EEEvSF_: ; @_ZN7rocprim17ROCPRIM_400000_NS6detail17trampoline_kernelINS0_14default_configENS1_22reduce_config_selectorI18summary_stats_dataIfEEEZNS1_11reduce_implILb1ES3_PS6_S9_S6_23summary_stats_binary_opIfEEE10hipError_tPvRmT1_T2_T3_mT4_P12ihipStream_tbEUlT_E1_NS1_11comp_targetILNS1_3genE10ELNS1_11target_archE1201ELNS1_3gpuE5ELNS1_3repE0EEENS1_30default_config_static_selectorELNS0_4arch9wavefront6targetE0EEEvSF_
; %bb.0:
	.section	.rodata,"a",@progbits
	.p2align	6, 0x0
	.amdhsa_kernel _ZN7rocprim17ROCPRIM_400000_NS6detail17trampoline_kernelINS0_14default_configENS1_22reduce_config_selectorI18summary_stats_dataIfEEEZNS1_11reduce_implILb1ES3_PS6_S9_S6_23summary_stats_binary_opIfEEE10hipError_tPvRmT1_T2_T3_mT4_P12ihipStream_tbEUlT_E1_NS1_11comp_targetILNS1_3genE10ELNS1_11target_archE1201ELNS1_3gpuE5ELNS1_3repE0EEENS1_30default_config_static_selectorELNS0_4arch9wavefront6targetE0EEEvSF_
		.amdhsa_group_segment_fixed_size 0
		.amdhsa_private_segment_fixed_size 0
		.amdhsa_kernarg_size 64
		.amdhsa_user_sgpr_count 15
		.amdhsa_user_sgpr_dispatch_ptr 0
		.amdhsa_user_sgpr_queue_ptr 0
		.amdhsa_user_sgpr_kernarg_segment_ptr 1
		.amdhsa_user_sgpr_dispatch_id 0
		.amdhsa_user_sgpr_private_segment_size 0
		.amdhsa_wavefront_size32 1
		.amdhsa_uses_dynamic_stack 0
		.amdhsa_enable_private_segment 0
		.amdhsa_system_sgpr_workgroup_id_x 1
		.amdhsa_system_sgpr_workgroup_id_y 0
		.amdhsa_system_sgpr_workgroup_id_z 0
		.amdhsa_system_sgpr_workgroup_info 0
		.amdhsa_system_vgpr_workitem_id 0
		.amdhsa_next_free_vgpr 1
		.amdhsa_next_free_sgpr 1
		.amdhsa_reserve_vcc 0
		.amdhsa_float_round_mode_32 0
		.amdhsa_float_round_mode_16_64 0
		.amdhsa_float_denorm_mode_32 3
		.amdhsa_float_denorm_mode_16_64 3
		.amdhsa_dx10_clamp 1
		.amdhsa_ieee_mode 1
		.amdhsa_fp16_overflow 0
		.amdhsa_workgroup_processor_mode 1
		.amdhsa_memory_ordered 1
		.amdhsa_forward_progress 0
		.amdhsa_shared_vgpr_count 0
		.amdhsa_exception_fp_ieee_invalid_op 0
		.amdhsa_exception_fp_denorm_src 0
		.amdhsa_exception_fp_ieee_div_zero 0
		.amdhsa_exception_fp_ieee_overflow 0
		.amdhsa_exception_fp_ieee_underflow 0
		.amdhsa_exception_fp_ieee_inexact 0
		.amdhsa_exception_int_div_zero 0
	.end_amdhsa_kernel
	.section	.text._ZN7rocprim17ROCPRIM_400000_NS6detail17trampoline_kernelINS0_14default_configENS1_22reduce_config_selectorI18summary_stats_dataIfEEEZNS1_11reduce_implILb1ES3_PS6_S9_S6_23summary_stats_binary_opIfEEE10hipError_tPvRmT1_T2_T3_mT4_P12ihipStream_tbEUlT_E1_NS1_11comp_targetILNS1_3genE10ELNS1_11target_archE1201ELNS1_3gpuE5ELNS1_3repE0EEENS1_30default_config_static_selectorELNS0_4arch9wavefront6targetE0EEEvSF_,"axG",@progbits,_ZN7rocprim17ROCPRIM_400000_NS6detail17trampoline_kernelINS0_14default_configENS1_22reduce_config_selectorI18summary_stats_dataIfEEEZNS1_11reduce_implILb1ES3_PS6_S9_S6_23summary_stats_binary_opIfEEE10hipError_tPvRmT1_T2_T3_mT4_P12ihipStream_tbEUlT_E1_NS1_11comp_targetILNS1_3genE10ELNS1_11target_archE1201ELNS1_3gpuE5ELNS1_3repE0EEENS1_30default_config_static_selectorELNS0_4arch9wavefront6targetE0EEEvSF_,comdat
.Lfunc_end14:
	.size	_ZN7rocprim17ROCPRIM_400000_NS6detail17trampoline_kernelINS0_14default_configENS1_22reduce_config_selectorI18summary_stats_dataIfEEEZNS1_11reduce_implILb1ES3_PS6_S9_S6_23summary_stats_binary_opIfEEE10hipError_tPvRmT1_T2_T3_mT4_P12ihipStream_tbEUlT_E1_NS1_11comp_targetILNS1_3genE10ELNS1_11target_archE1201ELNS1_3gpuE5ELNS1_3repE0EEENS1_30default_config_static_selectorELNS0_4arch9wavefront6targetE0EEEvSF_, .Lfunc_end14-_ZN7rocprim17ROCPRIM_400000_NS6detail17trampoline_kernelINS0_14default_configENS1_22reduce_config_selectorI18summary_stats_dataIfEEEZNS1_11reduce_implILb1ES3_PS6_S9_S6_23summary_stats_binary_opIfEEE10hipError_tPvRmT1_T2_T3_mT4_P12ihipStream_tbEUlT_E1_NS1_11comp_targetILNS1_3genE10ELNS1_11target_archE1201ELNS1_3gpuE5ELNS1_3repE0EEENS1_30default_config_static_selectorELNS0_4arch9wavefront6targetE0EEEvSF_
                                        ; -- End function
	.section	.AMDGPU.csdata,"",@progbits
; Kernel info:
; codeLenInByte = 0
; NumSgprs: 0
; NumVgprs: 0
; ScratchSize: 0
; MemoryBound: 0
; FloatMode: 240
; IeeeMode: 1
; LDSByteSize: 0 bytes/workgroup (compile time only)
; SGPRBlocks: 0
; VGPRBlocks: 0
; NumSGPRsForWavesPerEU: 1
; NumVGPRsForWavesPerEU: 1
; Occupancy: 16
; WaveLimiterHint : 0
; COMPUTE_PGM_RSRC2:SCRATCH_EN: 0
; COMPUTE_PGM_RSRC2:USER_SGPR: 15
; COMPUTE_PGM_RSRC2:TRAP_HANDLER: 0
; COMPUTE_PGM_RSRC2:TGID_X_EN: 1
; COMPUTE_PGM_RSRC2:TGID_Y_EN: 0
; COMPUTE_PGM_RSRC2:TGID_Z_EN: 0
; COMPUTE_PGM_RSRC2:TIDIG_COMP_CNT: 0
	.section	.text._ZN7rocprim17ROCPRIM_400000_NS6detail17trampoline_kernelINS0_14default_configENS1_22reduce_config_selectorI18summary_stats_dataIfEEEZNS1_11reduce_implILb1ES3_PS6_S9_S6_23summary_stats_binary_opIfEEE10hipError_tPvRmT1_T2_T3_mT4_P12ihipStream_tbEUlT_E1_NS1_11comp_targetILNS1_3genE10ELNS1_11target_archE1200ELNS1_3gpuE4ELNS1_3repE0EEENS1_30default_config_static_selectorELNS0_4arch9wavefront6targetE0EEEvSF_,"axG",@progbits,_ZN7rocprim17ROCPRIM_400000_NS6detail17trampoline_kernelINS0_14default_configENS1_22reduce_config_selectorI18summary_stats_dataIfEEEZNS1_11reduce_implILb1ES3_PS6_S9_S6_23summary_stats_binary_opIfEEE10hipError_tPvRmT1_T2_T3_mT4_P12ihipStream_tbEUlT_E1_NS1_11comp_targetILNS1_3genE10ELNS1_11target_archE1200ELNS1_3gpuE4ELNS1_3repE0EEENS1_30default_config_static_selectorELNS0_4arch9wavefront6targetE0EEEvSF_,comdat
	.protected	_ZN7rocprim17ROCPRIM_400000_NS6detail17trampoline_kernelINS0_14default_configENS1_22reduce_config_selectorI18summary_stats_dataIfEEEZNS1_11reduce_implILb1ES3_PS6_S9_S6_23summary_stats_binary_opIfEEE10hipError_tPvRmT1_T2_T3_mT4_P12ihipStream_tbEUlT_E1_NS1_11comp_targetILNS1_3genE10ELNS1_11target_archE1200ELNS1_3gpuE4ELNS1_3repE0EEENS1_30default_config_static_selectorELNS0_4arch9wavefront6targetE0EEEvSF_ ; -- Begin function _ZN7rocprim17ROCPRIM_400000_NS6detail17trampoline_kernelINS0_14default_configENS1_22reduce_config_selectorI18summary_stats_dataIfEEEZNS1_11reduce_implILb1ES3_PS6_S9_S6_23summary_stats_binary_opIfEEE10hipError_tPvRmT1_T2_T3_mT4_P12ihipStream_tbEUlT_E1_NS1_11comp_targetILNS1_3genE10ELNS1_11target_archE1200ELNS1_3gpuE4ELNS1_3repE0EEENS1_30default_config_static_selectorELNS0_4arch9wavefront6targetE0EEEvSF_
	.globl	_ZN7rocprim17ROCPRIM_400000_NS6detail17trampoline_kernelINS0_14default_configENS1_22reduce_config_selectorI18summary_stats_dataIfEEEZNS1_11reduce_implILb1ES3_PS6_S9_S6_23summary_stats_binary_opIfEEE10hipError_tPvRmT1_T2_T3_mT4_P12ihipStream_tbEUlT_E1_NS1_11comp_targetILNS1_3genE10ELNS1_11target_archE1200ELNS1_3gpuE4ELNS1_3repE0EEENS1_30default_config_static_selectorELNS0_4arch9wavefront6targetE0EEEvSF_
	.p2align	8
	.type	_ZN7rocprim17ROCPRIM_400000_NS6detail17trampoline_kernelINS0_14default_configENS1_22reduce_config_selectorI18summary_stats_dataIfEEEZNS1_11reduce_implILb1ES3_PS6_S9_S6_23summary_stats_binary_opIfEEE10hipError_tPvRmT1_T2_T3_mT4_P12ihipStream_tbEUlT_E1_NS1_11comp_targetILNS1_3genE10ELNS1_11target_archE1200ELNS1_3gpuE4ELNS1_3repE0EEENS1_30default_config_static_selectorELNS0_4arch9wavefront6targetE0EEEvSF_,@function
_ZN7rocprim17ROCPRIM_400000_NS6detail17trampoline_kernelINS0_14default_configENS1_22reduce_config_selectorI18summary_stats_dataIfEEEZNS1_11reduce_implILb1ES3_PS6_S9_S6_23summary_stats_binary_opIfEEE10hipError_tPvRmT1_T2_T3_mT4_P12ihipStream_tbEUlT_E1_NS1_11comp_targetILNS1_3genE10ELNS1_11target_archE1200ELNS1_3gpuE4ELNS1_3repE0EEENS1_30default_config_static_selectorELNS0_4arch9wavefront6targetE0EEEvSF_: ; @_ZN7rocprim17ROCPRIM_400000_NS6detail17trampoline_kernelINS0_14default_configENS1_22reduce_config_selectorI18summary_stats_dataIfEEEZNS1_11reduce_implILb1ES3_PS6_S9_S6_23summary_stats_binary_opIfEEE10hipError_tPvRmT1_T2_T3_mT4_P12ihipStream_tbEUlT_E1_NS1_11comp_targetILNS1_3genE10ELNS1_11target_archE1200ELNS1_3gpuE4ELNS1_3repE0EEENS1_30default_config_static_selectorELNS0_4arch9wavefront6targetE0EEEvSF_
; %bb.0:
	.section	.rodata,"a",@progbits
	.p2align	6, 0x0
	.amdhsa_kernel _ZN7rocprim17ROCPRIM_400000_NS6detail17trampoline_kernelINS0_14default_configENS1_22reduce_config_selectorI18summary_stats_dataIfEEEZNS1_11reduce_implILb1ES3_PS6_S9_S6_23summary_stats_binary_opIfEEE10hipError_tPvRmT1_T2_T3_mT4_P12ihipStream_tbEUlT_E1_NS1_11comp_targetILNS1_3genE10ELNS1_11target_archE1200ELNS1_3gpuE4ELNS1_3repE0EEENS1_30default_config_static_selectorELNS0_4arch9wavefront6targetE0EEEvSF_
		.amdhsa_group_segment_fixed_size 0
		.amdhsa_private_segment_fixed_size 0
		.amdhsa_kernarg_size 64
		.amdhsa_user_sgpr_count 15
		.amdhsa_user_sgpr_dispatch_ptr 0
		.amdhsa_user_sgpr_queue_ptr 0
		.amdhsa_user_sgpr_kernarg_segment_ptr 1
		.amdhsa_user_sgpr_dispatch_id 0
		.amdhsa_user_sgpr_private_segment_size 0
		.amdhsa_wavefront_size32 1
		.amdhsa_uses_dynamic_stack 0
		.amdhsa_enable_private_segment 0
		.amdhsa_system_sgpr_workgroup_id_x 1
		.amdhsa_system_sgpr_workgroup_id_y 0
		.amdhsa_system_sgpr_workgroup_id_z 0
		.amdhsa_system_sgpr_workgroup_info 0
		.amdhsa_system_vgpr_workitem_id 0
		.amdhsa_next_free_vgpr 1
		.amdhsa_next_free_sgpr 1
		.amdhsa_reserve_vcc 0
		.amdhsa_float_round_mode_32 0
		.amdhsa_float_round_mode_16_64 0
		.amdhsa_float_denorm_mode_32 3
		.amdhsa_float_denorm_mode_16_64 3
		.amdhsa_dx10_clamp 1
		.amdhsa_ieee_mode 1
		.amdhsa_fp16_overflow 0
		.amdhsa_workgroup_processor_mode 1
		.amdhsa_memory_ordered 1
		.amdhsa_forward_progress 0
		.amdhsa_shared_vgpr_count 0
		.amdhsa_exception_fp_ieee_invalid_op 0
		.amdhsa_exception_fp_denorm_src 0
		.amdhsa_exception_fp_ieee_div_zero 0
		.amdhsa_exception_fp_ieee_overflow 0
		.amdhsa_exception_fp_ieee_underflow 0
		.amdhsa_exception_fp_ieee_inexact 0
		.amdhsa_exception_int_div_zero 0
	.end_amdhsa_kernel
	.section	.text._ZN7rocprim17ROCPRIM_400000_NS6detail17trampoline_kernelINS0_14default_configENS1_22reduce_config_selectorI18summary_stats_dataIfEEEZNS1_11reduce_implILb1ES3_PS6_S9_S6_23summary_stats_binary_opIfEEE10hipError_tPvRmT1_T2_T3_mT4_P12ihipStream_tbEUlT_E1_NS1_11comp_targetILNS1_3genE10ELNS1_11target_archE1200ELNS1_3gpuE4ELNS1_3repE0EEENS1_30default_config_static_selectorELNS0_4arch9wavefront6targetE0EEEvSF_,"axG",@progbits,_ZN7rocprim17ROCPRIM_400000_NS6detail17trampoline_kernelINS0_14default_configENS1_22reduce_config_selectorI18summary_stats_dataIfEEEZNS1_11reduce_implILb1ES3_PS6_S9_S6_23summary_stats_binary_opIfEEE10hipError_tPvRmT1_T2_T3_mT4_P12ihipStream_tbEUlT_E1_NS1_11comp_targetILNS1_3genE10ELNS1_11target_archE1200ELNS1_3gpuE4ELNS1_3repE0EEENS1_30default_config_static_selectorELNS0_4arch9wavefront6targetE0EEEvSF_,comdat
.Lfunc_end15:
	.size	_ZN7rocprim17ROCPRIM_400000_NS6detail17trampoline_kernelINS0_14default_configENS1_22reduce_config_selectorI18summary_stats_dataIfEEEZNS1_11reduce_implILb1ES3_PS6_S9_S6_23summary_stats_binary_opIfEEE10hipError_tPvRmT1_T2_T3_mT4_P12ihipStream_tbEUlT_E1_NS1_11comp_targetILNS1_3genE10ELNS1_11target_archE1200ELNS1_3gpuE4ELNS1_3repE0EEENS1_30default_config_static_selectorELNS0_4arch9wavefront6targetE0EEEvSF_, .Lfunc_end15-_ZN7rocprim17ROCPRIM_400000_NS6detail17trampoline_kernelINS0_14default_configENS1_22reduce_config_selectorI18summary_stats_dataIfEEEZNS1_11reduce_implILb1ES3_PS6_S9_S6_23summary_stats_binary_opIfEEE10hipError_tPvRmT1_T2_T3_mT4_P12ihipStream_tbEUlT_E1_NS1_11comp_targetILNS1_3genE10ELNS1_11target_archE1200ELNS1_3gpuE4ELNS1_3repE0EEENS1_30default_config_static_selectorELNS0_4arch9wavefront6targetE0EEEvSF_
                                        ; -- End function
	.section	.AMDGPU.csdata,"",@progbits
; Kernel info:
; codeLenInByte = 0
; NumSgprs: 0
; NumVgprs: 0
; ScratchSize: 0
; MemoryBound: 0
; FloatMode: 240
; IeeeMode: 1
; LDSByteSize: 0 bytes/workgroup (compile time only)
; SGPRBlocks: 0
; VGPRBlocks: 0
; NumSGPRsForWavesPerEU: 1
; NumVGPRsForWavesPerEU: 1
; Occupancy: 16
; WaveLimiterHint : 0
; COMPUTE_PGM_RSRC2:SCRATCH_EN: 0
; COMPUTE_PGM_RSRC2:USER_SGPR: 15
; COMPUTE_PGM_RSRC2:TRAP_HANDLER: 0
; COMPUTE_PGM_RSRC2:TGID_X_EN: 1
; COMPUTE_PGM_RSRC2:TGID_Y_EN: 0
; COMPUTE_PGM_RSRC2:TGID_Z_EN: 0
; COMPUTE_PGM_RSRC2:TIDIG_COMP_CNT: 0
	.section	.text._ZN7rocprim17ROCPRIM_400000_NS6detail17trampoline_kernelINS0_14default_configENS1_22reduce_config_selectorI18summary_stats_dataIfEEEZNS1_11reduce_implILb1ES3_PS6_S9_S6_23summary_stats_binary_opIfEEE10hipError_tPvRmT1_T2_T3_mT4_P12ihipStream_tbEUlT_E1_NS1_11comp_targetILNS1_3genE9ELNS1_11target_archE1100ELNS1_3gpuE3ELNS1_3repE0EEENS1_30default_config_static_selectorELNS0_4arch9wavefront6targetE0EEEvSF_,"axG",@progbits,_ZN7rocprim17ROCPRIM_400000_NS6detail17trampoline_kernelINS0_14default_configENS1_22reduce_config_selectorI18summary_stats_dataIfEEEZNS1_11reduce_implILb1ES3_PS6_S9_S6_23summary_stats_binary_opIfEEE10hipError_tPvRmT1_T2_T3_mT4_P12ihipStream_tbEUlT_E1_NS1_11comp_targetILNS1_3genE9ELNS1_11target_archE1100ELNS1_3gpuE3ELNS1_3repE0EEENS1_30default_config_static_selectorELNS0_4arch9wavefront6targetE0EEEvSF_,comdat
	.protected	_ZN7rocprim17ROCPRIM_400000_NS6detail17trampoline_kernelINS0_14default_configENS1_22reduce_config_selectorI18summary_stats_dataIfEEEZNS1_11reduce_implILb1ES3_PS6_S9_S6_23summary_stats_binary_opIfEEE10hipError_tPvRmT1_T2_T3_mT4_P12ihipStream_tbEUlT_E1_NS1_11comp_targetILNS1_3genE9ELNS1_11target_archE1100ELNS1_3gpuE3ELNS1_3repE0EEENS1_30default_config_static_selectorELNS0_4arch9wavefront6targetE0EEEvSF_ ; -- Begin function _ZN7rocprim17ROCPRIM_400000_NS6detail17trampoline_kernelINS0_14default_configENS1_22reduce_config_selectorI18summary_stats_dataIfEEEZNS1_11reduce_implILb1ES3_PS6_S9_S6_23summary_stats_binary_opIfEEE10hipError_tPvRmT1_T2_T3_mT4_P12ihipStream_tbEUlT_E1_NS1_11comp_targetILNS1_3genE9ELNS1_11target_archE1100ELNS1_3gpuE3ELNS1_3repE0EEENS1_30default_config_static_selectorELNS0_4arch9wavefront6targetE0EEEvSF_
	.globl	_ZN7rocprim17ROCPRIM_400000_NS6detail17trampoline_kernelINS0_14default_configENS1_22reduce_config_selectorI18summary_stats_dataIfEEEZNS1_11reduce_implILb1ES3_PS6_S9_S6_23summary_stats_binary_opIfEEE10hipError_tPvRmT1_T2_T3_mT4_P12ihipStream_tbEUlT_E1_NS1_11comp_targetILNS1_3genE9ELNS1_11target_archE1100ELNS1_3gpuE3ELNS1_3repE0EEENS1_30default_config_static_selectorELNS0_4arch9wavefront6targetE0EEEvSF_
	.p2align	8
	.type	_ZN7rocprim17ROCPRIM_400000_NS6detail17trampoline_kernelINS0_14default_configENS1_22reduce_config_selectorI18summary_stats_dataIfEEEZNS1_11reduce_implILb1ES3_PS6_S9_S6_23summary_stats_binary_opIfEEE10hipError_tPvRmT1_T2_T3_mT4_P12ihipStream_tbEUlT_E1_NS1_11comp_targetILNS1_3genE9ELNS1_11target_archE1100ELNS1_3gpuE3ELNS1_3repE0EEENS1_30default_config_static_selectorELNS0_4arch9wavefront6targetE0EEEvSF_,@function
_ZN7rocprim17ROCPRIM_400000_NS6detail17trampoline_kernelINS0_14default_configENS1_22reduce_config_selectorI18summary_stats_dataIfEEEZNS1_11reduce_implILb1ES3_PS6_S9_S6_23summary_stats_binary_opIfEEE10hipError_tPvRmT1_T2_T3_mT4_P12ihipStream_tbEUlT_E1_NS1_11comp_targetILNS1_3genE9ELNS1_11target_archE1100ELNS1_3gpuE3ELNS1_3repE0EEENS1_30default_config_static_selectorELNS0_4arch9wavefront6targetE0EEEvSF_: ; @_ZN7rocprim17ROCPRIM_400000_NS6detail17trampoline_kernelINS0_14default_configENS1_22reduce_config_selectorI18summary_stats_dataIfEEEZNS1_11reduce_implILb1ES3_PS6_S9_S6_23summary_stats_binary_opIfEEE10hipError_tPvRmT1_T2_T3_mT4_P12ihipStream_tbEUlT_E1_NS1_11comp_targetILNS1_3genE9ELNS1_11target_archE1100ELNS1_3gpuE3ELNS1_3repE0EEENS1_30default_config_static_selectorELNS0_4arch9wavefront6targetE0EEEvSF_
; %bb.0:
	s_mov_b32 s10, s15
	s_clause 0x2
	s_load_b32 s9, s[0:1], 0x4
	s_load_b128 s[20:23], s[0:1], 0x8
	s_load_b256 s[12:19], s[0:1], 0x20
	s_waitcnt lgkmcnt(0)
	s_cmp_lt_i32 s9, 2
	s_cbranch_scc1 .LBB16_9
; %bb.1:
	s_cmp_gt_i32 s9, 3
	s_cbranch_scc0 .LBB16_10
; %bb.2:
	s_cmp_eq_u32 s9, 4
	s_mov_b32 s26, 0
	s_cbranch_scc0 .LBB16_11
; %bb.3:
	s_lshl_b32 s19, s10, 10
	s_mul_i32 s4, s10, 0x7000
	s_lshr_b64 s[2:3], s[22:23], 10
	s_mul_hi_u32 s5, s19, 28
	s_mov_b32 s11, 0
	s_add_u32 s24, s20, s4
	s_addc_u32 s25, s21, s5
	s_cmp_lg_u64 s[2:3], s[10:11]
	s_cbranch_scc0 .LBB16_20
; %bb.4:
	v_mad_u64_u32 v[17:18], null, v0, 28, s[24:25]
	s_delay_alu instid0(VALU_DEP_1) | instskip(NEXT) | instid1(VALU_DEP_2)
	v_add_co_u32 v1, vcc_lo, 0x1000, v17
	v_add_co_ci_u32_e32 v2, vcc_lo, 0, v18, vcc_lo
	v_add_co_u32 v3, vcc_lo, 0x1c00, v17
	v_add_co_ci_u32_e32 v4, vcc_lo, 0, v18, vcc_lo
	s_clause 0x3
	global_load_b128 v[9:12], v[17:18], off
	global_load_b128 v[13:16], v[1:2], off offset:3072
	global_load_b96 v[24:26], v[17:18], off offset:16
	global_load_b96 v[31:33], v[3:4], off offset:16
	v_add_co_u32 v1, vcc_lo, 0x3000, v17
	v_add_co_ci_u32_e32 v2, vcc_lo, 0, v18, vcc_lo
	v_add_co_u32 v3, vcc_lo, 0x5000, v17
	v_add_co_ci_u32_e32 v4, vcc_lo, 0, v18, vcc_lo
	s_clause 0x1
	global_load_b128 v[5:8], v[1:2], off offset:2048
	global_load_b128 v[1:4], v[3:4], off offset:1024
	v_add_co_u32 v19, vcc_lo, 0x3800, v17
	v_add_co_ci_u32_e32 v20, vcc_lo, 0, v18, vcc_lo
	v_add_co_u32 v17, vcc_lo, 0x5400, v17
	v_add_co_ci_u32_e32 v18, vcc_lo, 0, v18, vcc_lo
	s_clause 0x1
	global_load_b96 v[20:22], v[19:20], off offset:16
	global_load_b96 v[17:19], v[17:18], off offset:16
	s_waitcnt vmcnt(6)
	v_dual_mul_f32 v27, v9, v9 :: v_dual_sub_f32 v16, v16, v12
	v_cmp_lt_f32_e32 vcc_lo, v14, v10
	v_add_f32_e32 v23, v9, v13
	v_sub_f32_e32 v36, v9, v13
	s_delay_alu instid0(VALU_DEP_4)
	v_fma_f32 v28, -v9, v13, v27
	s_waitcnt vmcnt(5)
	v_dual_mul_f32 v34, v24, v13 :: v_dual_cndmask_b32 v29, v10, v14
	v_cmp_lt_f32_e32 vcc_lo, v11, v15
	s_waitcnt vmcnt(4)
	v_add_f32_e32 v14, v24, v31
	v_add_f32_e32 v10, v26, v33
	v_dual_mul_f32 v26, v13, v13 :: v_dual_mul_f32 v35, v27, v31
	v_cndmask_b32_e32 v15, v11, v15, vcc_lo
	v_add_f32_e32 v11, v25, v32
	v_mul_f32_e32 v25, v25, v13
	v_dual_mul_f32 v33, v16, v16 :: v_dual_fmac_f32 v28, v13, v13
	v_mul_f32_e32 v37, 0x40400000, v16
	v_fma_f32 v31, v9, v31, -v34
	s_waitcnt vmcnt(3)
	v_cmp_lt_f32_e32 vcc_lo, v6, v29
	v_dual_mul_f32 v40, v13, v16 :: v_dual_fmac_f32 v35, v24, v26
	v_mul_f32_e32 v24, 4.0, v16
	v_fma_f32 v25, v9, v32, -v25
	v_add_f32_e32 v26, v23, v5
	v_cndmask_b32_e32 v6, v29, v6, vcc_lo
	v_cmp_lt_f32_e32 vcc_lo, v15, v7
	v_dual_mul_f32 v45, v37, v31 :: v_dual_mul_f32 v34, 0x40c00000, v33
	s_waitcnt vmcnt(2)
	v_dual_mul_f32 v30, v1, v1 :: v_dual_mul_f32 v39, v23, v23
	v_dual_cndmask_b32 v7, v15, v7 :: v_dual_mul_f32 v46, v24, v25
	s_delay_alu instid0(VALU_DEP_3) | instskip(SKIP_3) | instid1(VALU_DEP_3)
	v_mul_f32_e32 v53, v34, v35
	v_cmp_lt_f32_e64 s2, v2, v6
	v_div_scale_f32 v43, null, v23, v23, v40
	v_div_scale_f32 v51, null, v23, v23, v45
	v_cndmask_b32_e64 v2, v6, v2, s2
	v_div_scale_f32 v59, null, v39, v39, v53
	s_delay_alu instid0(VALU_DEP_4) | instskip(NEXT) | instid1(VALU_DEP_3)
	v_rcp_f32_e32 v49, v43
	v_rcp_f32_e32 v58, v51
	s_delay_alu instid0(VALU_DEP_2) | instskip(NEXT) | instid1(VALU_DEP_2)
	v_mov_b32_dpp v24, v2 quad_perm:[1,0,3,2] row_mask:0xf bank_mask:0xf
	v_rcp_f32_e32 v66, v59
	s_waitcnt vmcnt(1)
	v_dual_mul_f32 v29, v16, v33 :: v_dual_mul_f32 v48, v39, v20
	v_add_f32_e32 v15, v26, v1
	v_cmp_lt_f32_e64 s2, v7, v3
	v_cmp_lt_f32_e64 s6, v2, v24
	v_fma_f32 v47, -v23, v5, v39
	v_div_scale_f32 v44, vcc_lo, v40, v23, v40
	s_delay_alu instid0(VALU_DEP_4)
	v_cndmask_b32_e64 v6, v7, v3, s2
	v_mov_b32_dpp v25, v15 quad_perm:[1,0,3,2] row_mask:0xf bank_mask:0xf
	v_mul_f32_e32 v3, v16, v29
	v_cndmask_b32_e64 v62, v24, v2, s6
	v_fma_f32 v2, -v43, v49, 1.0
	v_fma_f32 v70, -v51, v58, 1.0
	;; [unrolled: 1-line block ×3, first 2 shown]
	v_dual_mul_f32 v32, v9, v33 :: v_dual_mul_f32 v33, v26, v26
	v_mul_f32_e32 v7, v9, v29
	v_div_scale_f32 v52, s3, v45, v23, v45
	v_dual_fmac_f32 v47, v5, v5 :: v_dual_fmac_f32 v58, v70, v58
	v_dual_mul_f32 v63, v25, v25 :: v_dual_fmac_f32 v66, v75, v66
	v_fmac_f32_e32 v49, v2, v49
	v_mul_f32_e32 v9, v9, v3
	s_delay_alu instid0(VALU_DEP_4) | instskip(SKIP_1) | instid1(VALU_DEP_4)
	v_dual_add_f32 v3, v15, v25 :: v_dual_mul_f32 v78, v52, v58
	v_div_scale_f32 v60, s4, v53, v39, v53
	v_mul_f32_e32 v72, v44, v49
	s_delay_alu instid0(VALU_DEP_3) | instskip(NEXT) | instid1(VALU_DEP_4)
	v_mov_b32_dpp v24, v3 quad_perm:[2,3,0,1] row_mask:0xf bank_mask:0xf
	v_fma_f32 v81, -v51, v78, v52
	s_delay_alu instid0(VALU_DEP_4) | instskip(SKIP_1) | instid1(VALU_DEP_4)
	v_dual_mul_f32 v82, v60, v66 :: v_dual_sub_f32 v41, v23, v5
	v_mul_f32_e32 v50, v13, v32
	v_add_f32_e32 v2, v3, v24
	v_fma_f32 v38, -v15, v25, v63
	v_fma_f32 v77, -v43, v72, v44
	v_fmac_f32_e32 v78, v81, v58
	v_fma_f32 v81, -v59, v82, v60
	v_div_scale_f32 v56, null, v23, v23, v50
	v_fmac_f32_e32 v38, v15, v15
	v_mul_f32_e32 v7, v13, v7
	s_delay_alu instid0(VALU_DEP_4)
	v_fmac_f32_e32 v82, v81, v66
	v_fmac_f32_e32 v72, v77, v49
	v_mov_b32_dpp v34, v6 quad_perm:[1,0,3,2] row_mask:0xf bank_mask:0xf
	v_rcp_f32_e32 v64, v56
	v_mul_f32_e32 v65, v36, v7
	v_mul_f32_e32 v7, v13, v9
	;; [unrolled: 1-line block ×3, first 2 shown]
	v_cmp_gt_f32_e64 s6, v6, v34
	v_div_scale_f32 v57, s5, v50, v23, v50
	v_div_scale_f32 v68, null, v39, v39, v65
	s_delay_alu instid0(VALU_DEP_3) | instskip(SKIP_1) | instid1(VALU_DEP_3)
	v_cndmask_b32_e64 v6, v34, v6, s6
	v_div_scale_f32 v69, s6, v65, v39, v65
	v_rcp_f32_e32 v73, v68
	v_dual_mul_f32 v27, v5, v5 :: v_dual_mul_f32 v42, v23, v39
	v_fma_f32 v43, -v43, v72, v44
	v_div_scale_f32 v54, null, v23, v23, v46
	v_mov_b32_dpp v9, v62 quad_perm:[2,3,0,1] row_mask:0xf bank_mask:0xf
	v_mov_b32_dpp v67, v6 quad_perm:[2,3,0,1] row_mask:0xf bank_mask:0xf
	s_delay_alu instid0(VALU_DEP_4) | instskip(NEXT) | instid1(VALU_DEP_4)
	v_div_fmas_f32 v43, v43, v49, v72
	v_rcp_f32_e32 v61, v54
	s_delay_alu instid0(TRANS32_DEP_2) | instskip(SKIP_3) | instid1(VALU_DEP_4)
	v_fma_f32 v80, -v68, v73, 1.0
	v_cmp_lt_f32_e64 s7, v62, v9
	v_div_scale_f32 v55, s2, v46, v23, v46
	v_div_fixup_f32 v40, v43, v23, v40
	v_fmac_f32_e32 v73, v80, v73
	v_mul_f32_e32 v71, v28, v7
	v_fma_f32 v28, -v56, v64, 1.0
	s_waitcnt vmcnt(0)
	v_mul_f32_e32 v37, v33, v17
	v_fma_f32 v7, -v54, v61, 1.0
	v_cndmask_b32_e64 v9, v9, v62, s7
	v_cmp_gt_f32_e64 s7, v6, v67
	v_fmac_f32_e32 v64, v28, v64
	s_mov_b32 vcc_lo, s5
	v_fma_f32 v49, -v51, v78, v52
	v_dual_mul_f32 v35, v26, v33 :: v_dual_sub_f32 v62, v24, v3
	s_delay_alu instid0(VALU_DEP_3) | instskip(SKIP_3) | instid1(VALU_DEP_4)
	v_mul_f32_e32 v77, v57, v64
	v_cndmask_b32_e64 v6, v67, v6, s7
	v_dual_sub_f32 v31, v26, v1 :: v_dual_mul_f32 v16, v15, v15
	v_fma_f32 v32, -v26, v1, v33
	v_fma_f32 v44, -v56, v77, v57
	v_sub_f32_e32 v34, v25, v15
	v_mul_f32_e32 v36, v3, v13
	s_delay_alu instid0(VALU_DEP_4) | instskip(NEXT) | instid1(VALU_DEP_4)
	v_dual_mul_f32 v29, v15, v16 :: v_dual_fmac_f32 v32, v1, v1
	v_dual_fmac_f32 v77, v44, v64 :: v_dual_mul_f32 v44, v69, v73
	v_div_scale_f32 v70, null, v42, v42, v71
	v_div_scale_f32 v74, s7, v71, v42, v71
	s_delay_alu instid0(VALU_DEP_3) | instskip(NEXT) | instid1(VALU_DEP_3)
	v_fma_f32 v43, -v56, v77, v57
	v_rcp_f32_e32 v79, v70
	v_fma_f32 v51, -v68, v44, v69
	v_add_f32_e32 v12, v12, v40
	s_delay_alu instid0(VALU_DEP_3) | instskip(SKIP_1) | instid1(VALU_DEP_2)
	v_div_fmas_f32 v43, v43, v64, v77
	s_mov_b32 vcc_lo, s6
	v_sub_f32_e32 v8, v8, v12
	s_delay_alu instid0(VALU_DEP_2) | instskip(SKIP_4) | instid1(VALU_DEP_3)
	v_div_fixup_f32 v40, v43, v23, v50
	s_waitcnt_depctr 0xfff
	v_fma_f32 v80, -v70, v79, 1.0
	v_fma_f32 v43, -v59, v82, v60
	v_mul_f32_e32 v56, 4.0, v8
	v_dual_add_f32 v14, v14, v40 :: v_dual_fmac_f32 v79, v80, v79
	v_fmac_f32_e32 v61, v7, v61
	v_dual_mul_f32 v7, v2, v2 :: v_dual_fmac_f32 v44, v51, v73
	s_delay_alu instid0(VALU_DEP_3) | instskip(NEXT) | instid1(VALU_DEP_3)
	v_fmac_f32_e32 v48, v27, v14
	v_dual_mul_f32 v52, v74, v79 :: v_dual_mul_f32 v75, v55, v61
	v_add_f32_e32 v59, v14, v20
	s_delay_alu instid0(VALU_DEP_4) | instskip(SKIP_1) | instid1(VALU_DEP_4)
	v_fma_f32 v50, -v68, v44, v69
	v_mul_f32_e32 v64, v5, v14
	v_fma_f32 v51, -v70, v52, v74
	v_fma_f32 v83, -v54, v75, v55
	v_dual_mul_f32 v67, v24, v24 :: v_dual_mul_f32 v28, v2, v7
	v_div_fmas_f32 v40, v50, v73, v44
	s_delay_alu instid0(VALU_DEP_4) | instskip(NEXT) | instid1(VALU_DEP_4)
	v_fmac_f32_e32 v52, v51, v79
	v_fmac_f32_e32 v75, v83, v61
	s_mov_b32 vcc_lo, s3
	v_fma_f32 v20, v23, v20, -v64
	v_div_fmas_f32 v49, v49, v58, v78
	v_fma_f32 v44, -v70, v52, v74
	s_mov_b32 vcc_lo, s7
	v_div_fixup_f32 v40, v40, v39, v65
	v_fma_f32 v54, -v54, v75, v55
	v_mul_f32_e32 v55, 0x40400000, v8
	v_div_fmas_f32 v44, v44, v79, v52
	s_mov_b32 vcc_lo, s4
	v_add_f32_e32 v11, v11, v40
	v_div_fmas_f32 v27, v43, v66, v82
	s_mov_b32 vcc_lo, s2
	v_div_fixup_f32 v40, v44, v42, v71
	v_div_fmas_f32 v43, v54, v61, v75
	v_div_fixup_f32 v14, v49, v23, v45
	v_div_fixup_f32 v27, v27, v39, v53
	v_fma_f32 v76, -v3, v24, v67
	v_add_f32_e32 v10, v10, v40
	v_div_fixup_f32 v39, v43, v23, v46
	s_delay_alu instid0(VALU_DEP_2) | instskip(NEXT) | instid1(VALU_DEP_1)
	v_add_f32_e32 v10, v27, v10
	v_add_f32_e32 v10, v39, v10
	s_delay_alu instid0(VALU_DEP_1) | instskip(SKIP_1) | instid1(VALU_DEP_1)
	v_add_f32_e32 v10, v22, v10
	v_dual_mul_f32 v50, v8, v8 :: v_dual_add_f32 v11, v14, v11
	v_dual_mul_f32 v51, v5, v8 :: v_dual_mul_f32 v52, v8, v50
	v_mul_f32_e32 v60, v23, v50
	s_delay_alu instid0(VALU_DEP_2) | instskip(SKIP_1) | instid1(VALU_DEP_4)
	v_div_scale_f32 v57, null, v26, v26, v51
	v_div_scale_f32 v58, s3, v51, v26, v51
	v_mul_f32_e32 v45, v23, v52
	s_delay_alu instid0(VALU_DEP_3) | instskip(SKIP_2) | instid1(VALU_DEP_2)
	v_rcp_f32_e32 v42, v57
	v_mul_f32_e32 v50, 0x40c00000, v50
	s_mov_b32 vcc_lo, s3
	v_dual_mul_f32 v43, v5, v45 :: v_dual_mul_f32 v8, v8, v52
	s_delay_alu instid0(VALU_DEP_1) | instskip(NEXT) | instid1(VALU_DEP_2)
	v_dual_mul_f32 v48, v50, v48 :: v_dual_mul_f32 v41, v41, v43
	v_mul_f32_e32 v8, v23, v8
	s_waitcnt_depctr 0xfff
	v_fma_f32 v27, -v57, v42, 1.0
	v_mul_f32_e32 v8, v5, v8
	s_delay_alu instid0(VALU_DEP_2)
	v_fmac_f32_e32 v42, v27, v42
	v_mul_f32_e32 v44, v5, v60
	v_mul_f32_e32 v5, v5, v11
	v_div_scale_f32 v45, null, v33, v33, v48
	v_mul_f32_e32 v8, v47, v8
	v_div_scale_f32 v27, s6, v41, v33, v41
	s_delay_alu instid0(VALU_DEP_4) | instskip(NEXT) | instid1(VALU_DEP_4)
	v_fma_f32 v5, v23, v21, -v5
	v_rcp_f32_e32 v53, v45
	s_delay_alu instid0(VALU_DEP_3) | instskip(SKIP_1) | instid1(VALU_DEP_3)
	v_div_scale_f32 v22, null, v35, v35, v8
	v_div_scale_f32 v54, s7, v8, v35, v8
	v_mul_f32_e32 v5, v56, v5
	s_delay_alu instid0(VALU_DEP_3) | instskip(SKIP_1) | instid1(VALU_DEP_2)
	v_rcp_f32_e32 v60, v22
	v_div_scale_f32 v46, s4, v48, v33, v48
	v_div_scale_f32 v61, s8, v5, v26, v5
	s_waitcnt_depctr 0xfff
	v_fma_f32 v66, -v22, v60, 1.0
	s_delay_alu instid0(VALU_DEP_1) | instskip(SKIP_3) | instid1(VALU_DEP_3)
	v_fmac_f32_e32 v60, v66, v60
	v_dual_add_f32 v50, v11, v21 :: v_dual_mul_f32 v21, v58, v42
	v_div_scale_f32 v14, null, v26, v26, v44
	v_div_scale_f32 v40, s2, v44, v26, v44
	v_fma_f32 v56, -v57, v21, v58
	s_delay_alu instid0(VALU_DEP_3) | instskip(SKIP_4) | instid1(VALU_DEP_4)
	v_rcp_f32_e32 v49, v14
	v_mul_f32_e32 v20, v55, v20
	v_fma_f32 v55, -v45, v53, 1.0
	v_div_scale_f32 v11, null, v33, v33, v41
	v_fmac_f32_e32 v21, v56, v42
	v_div_scale_f32 v43, null, v26, v26, v20
	v_div_scale_f32 v52, s5, v20, v26, v20
	s_delay_alu instid0(TRANS32_DEP_1) | instskip(NEXT) | instid1(VALU_DEP_3)
	v_fma_f32 v23, -v14, v49, 1.0
	v_rcp_f32_e32 v39, v43
	v_fma_f32 v57, -v57, v21, v58
	v_rcp_f32_e32 v47, v11
	s_delay_alu instid0(VALU_DEP_2) | instskip(NEXT) | instid1(VALU_DEP_1)
	v_fmac_f32_e32 v49, v23, v49
	v_mul_f32_e32 v56, v40, v49
	s_waitcnt_depctr 0xfff
	v_fma_f32 v23, -v43, v39, 1.0
	v_fma_f32 v64, -v11, v47, 1.0
	v_fma_f32 v58, -v14, v56, v40
	s_delay_alu instid0(VALU_DEP_3) | instskip(NEXT) | instid1(VALU_DEP_2)
	v_fmac_f32_e32 v39, v23, v39
	v_dual_fmac_f32 v47, v64, v47 :: v_dual_fmac_f32 v56, v58, v49
	s_delay_alu instid0(VALU_DEP_2) | instskip(SKIP_1) | instid1(VALU_DEP_3)
	v_dual_fmac_f32 v53, v55, v53 :: v_dual_mul_f32 v64, v52, v39
	v_div_scale_f32 v55, null, v26, v26, v5
	v_fma_f32 v14, -v14, v56, v40
	s_delay_alu instid0(VALU_DEP_3) | instskip(NEXT) | instid1(VALU_DEP_3)
	v_mul_f32_e32 v23, v46, v53
	v_rcp_f32_e32 v65, v55
	s_delay_alu instid0(VALU_DEP_1) | instskip(NEXT) | instid1(VALU_DEP_1)
	v_fma_f32 v68, -v45, v23, v46
	v_fmac_f32_e32 v23, v68, v53
	s_waitcnt_depctr 0xfff
	v_fma_f32 v58, -v55, v65, 1.0
	v_fma_f32 v45, -v45, v23, v46
	s_delay_alu instid0(VALU_DEP_2)
	v_fmac_f32_e32 v65, v58, v65
	v_div_fmas_f32 v21, v57, v42, v21
	s_mov_b32 vcc_lo, s2
	v_fma_f32 v57, -v43, v64, v52
	v_div_fmas_f32 v14, v14, v49, v56
	s_mov_b32 vcc_lo, s6
	v_div_fixup_f32 v21, v21, v26, v51
	v_mul_f32_e32 v51, v54, v60
	s_delay_alu instid0(VALU_DEP_3) | instskip(NEXT) | instid1(VALU_DEP_3)
	v_div_fixup_f32 v14, v14, v26, v44
	v_add_f32_e32 v12, v12, v21
	s_delay_alu instid0(VALU_DEP_3) | instskip(SKIP_1) | instid1(VALU_DEP_4)
	v_fma_f32 v21, -v22, v51, v54
	v_mul_f32_e32 v42, v27, v47
	v_add_f32_e32 v14, v59, v14
	s_delay_alu instid0(VALU_DEP_4) | instskip(NEXT) | instid1(VALU_DEP_4)
	v_sub_f32_e32 v4, v4, v12
	v_fmac_f32_e32 v51, v21, v60
	s_delay_alu instid0(VALU_DEP_4) | instskip(NEXT) | instid1(VALU_DEP_4)
	v_fma_f32 v40, -v11, v42, v27
	v_dual_add_f32 v49, v14, v17 :: v_dual_fmac_f32 v64, v57, v39
	s_delay_alu instid0(VALU_DEP_3) | instskip(NEXT) | instid1(VALU_DEP_3)
	v_fma_f32 v22, -v22, v51, v54
	v_fmac_f32_e32 v42, v40, v47
	s_delay_alu instid0(VALU_DEP_1) | instskip(NEXT) | instid1(VALU_DEP_1)
	v_fma_f32 v11, -v11, v42, v27
	v_div_fmas_f32 v11, v11, v47, v42
	s_mov_b32 vcc_lo, s5
	s_delay_alu instid0(VALU_DEP_1) | instskip(NEXT) | instid1(VALU_DEP_1)
	v_div_fixup_f32 v11, v11, v33, v41
	v_dual_add_f32 v11, v50, v11 :: v_dual_mul_f32 v40, v61, v65
	v_fmac_f32_e32 v37, v30, v14
	s_delay_alu instid0(VALU_DEP_2) | instskip(NEXT) | instid1(VALU_DEP_1)
	v_fma_f32 v21, -v55, v40, v61
	v_dual_fmac_f32 v40, v21, v65 :: v_dual_mul_f32 v21, v4, v4
	v_fma_f32 v43, -v43, v64, v52
	s_delay_alu instid0(VALU_DEP_1)
	v_div_fmas_f32 v39, v43, v39, v64
	s_mov_b32 vcc_lo, s7
	v_div_fmas_f32 v22, v22, v60, v51
	v_mul_f32_e32 v51, v26, v21
	v_mul_f32_e32 v27, v1, v4
	;; [unrolled: 1-line block ×4, first 2 shown]
	s_mov_b32 vcc_lo, s4
	v_mul_f32_e32 v42, 0x40400000, v4
	v_div_scale_f32 v46, null, v15, v15, v27
	s_delay_alu instid0(VALU_DEP_3)
	v_mul_f32_e32 v21, v21, v37
	v_mul_f32_e32 v52, v1, v14
	v_div_fixup_f32 v14, v39, v26, v20
	v_div_fmas_f32 v20, v45, v53, v23
	v_div_fixup_f32 v8, v22, v35, v8
	v_rcp_f32_e32 v23, v46
	v_mul_f32_e32 v35, v26, v43
	v_fma_f32 v41, -v55, v40, v61
	v_div_fixup_f32 v20, v20, v33, v48
	v_div_scale_f32 v33, null, v16, v16, v21
	s_mov_b32 vcc_lo, s8
	v_dual_mul_f32 v44, 4.0, v4 :: v_dual_add_f32 v11, v14, v11
	v_div_fmas_f32 v22, v41, v65, v40
	v_mul_f32_e32 v4, v4, v43
	v_add_f32_e32 v8, v10, v8
	v_rcp_f32_e32 v41, v33
	v_add_f32_e32 v39, v11, v18
	v_div_fixup_f32 v5, v22, v26, v5
	v_div_scale_f32 v47, s2, v27, v15, v27
	v_add_f32_e32 v8, v20, v8
	v_fma_f32 v20, -v46, v23, 1.0
	v_mul_f32_e32 v4, v26, v4
	v_mul_f32_e32 v22, v1, v35
	v_fma_f32 v17, v26, v17, -v52
	s_delay_alu instid0(TRANS32_DEP_1) | instskip(NEXT) | instid1(VALU_DEP_4)
	v_fma_f32 v43, -v33, v41, 1.0
	v_dual_fmac_f32 v23, v20, v23 :: v_dual_mul_f32 v4, v1, v4
	v_add_f32_e32 v5, v5, v8
	v_mul_f32_e32 v30, v1, v51
	v_mul_f32_e32 v1, v1, v11
	s_delay_alu instid0(VALU_DEP_4) | instskip(SKIP_2) | instid1(VALU_DEP_3)
	v_dual_fmac_f32 v41, v43, v41 :: v_dual_mul_f32 v4, v32, v4
	s_mov_b32 vcc_lo, s2
	v_mul_f32_e32 v17, v42, v17
	v_fma_f32 v1, v26, v18, -v1
	v_mul_f32_e32 v18, v47, v23
	v_add_f32_e32 v5, v19, v5
	v_div_scale_f32 v19, null, v29, v29, v4
	v_div_scale_f32 v10, null, v15, v15, v30
	v_mul_f32_e32 v1, v44, v1
	s_delay_alu instid0(VALU_DEP_3) | instskip(SKIP_1) | instid1(VALU_DEP_3)
	v_rcp_f32_e32 v45, v19
	v_div_scale_f32 v14, s3, v30, v15, v30
	v_rcp_f32_e32 v37, v10
	v_fma_f32 v44, -v46, v18, v47
	v_div_scale_f32 v43, null, v15, v15, v1
	v_div_scale_f32 v42, s7, v4, v29, v4
	v_div_scale_f32 v48, s8, v1, v15, v1
	s_delay_alu instid0(TRANS32_DEP_2) | instskip(SKIP_1) | instid1(TRANS32_DEP_1)
	v_fma_f32 v52, -v19, v45, 1.0
	v_mul_f32_e32 v22, v31, v22
	v_fma_f32 v26, -v10, v37, 1.0
	v_rcp_f32_e32 v51, v43
	v_div_scale_f32 v31, null, v15, v15, v17
	v_fmac_f32_e32 v45, v52, v45
	v_div_scale_f32 v8, null, v16, v16, v22
	v_fmac_f32_e32 v37, v26, v37
	v_div_scale_f32 v11, s6, v22, v16, v22
	s_delay_alu instid0(VALU_DEP_3)
	v_rcp_f32_e32 v32, v8
	v_rcp_f32_e32 v20, v31
	v_div_scale_f32 v40, s5, v17, v15, v17
	v_div_scale_f32 v35, s4, v21, v16, v21
	s_waitcnt_depctr 0xfff
	v_fma_f32 v50, -v8, v32, 1.0
	v_fma_f32 v26, -v31, v20, 1.0
	s_delay_alu instid0(VALU_DEP_2) | instskip(SKIP_2) | instid1(VALU_DEP_2)
	v_fmac_f32_e32 v32, v50, v32
	v_fmac_f32_e32 v18, v44, v23
	v_mul_f32_e32 v44, v14, v37
	v_fma_f32 v46, -v46, v18, v47
	s_delay_alu instid0(VALU_DEP_2) | instskip(NEXT) | instid1(VALU_DEP_2)
	v_fma_f32 v47, -v10, v44, v14
	v_div_fmas_f32 v18, v46, v23, v18
	v_mul_f32_e32 v23, v11, v32
	s_delay_alu instid0(VALU_DEP_3)
	v_fmac_f32_e32 v44, v47, v37
	s_mov_b32 vcc_lo, s3
	v_fma_f32 v47, -v43, v51, 1.0
	v_div_fixup_f32 v18, v18, v15, v27
	v_mul_f32_e32 v27, v42, v45
	v_fma_f32 v10, -v10, v44, v14
	v_fma_f32 v14, -v8, v23, v11
	v_fmac_f32_e32 v51, v47, v51
	s_delay_alu instid0(VALU_DEP_2) | instskip(NEXT) | instid1(VALU_DEP_4)
	v_fmac_f32_e32 v23, v14, v32
	v_div_fmas_f32 v10, v10, v37, v44
	s_mov_b32 vcc_lo, s6
	v_fma_f32 v14, -v19, v27, v42
	v_add_f32_e32 v12, v12, v18
	v_fma_f32 v8, -v8, v23, v11
	v_div_fixup_f32 v10, v10, v15, v30
	s_delay_alu instid0(VALU_DEP_4) | instskip(NEXT) | instid1(VALU_DEP_4)
	v_fmac_f32_e32 v27, v14, v45
	v_mov_b32_dpp v14, v12 quad_perm:[1,0,3,2] row_mask:0xf bank_mask:0xf
	s_delay_alu instid0(VALU_DEP_4) | instskip(NEXT) | instid1(VALU_DEP_4)
	v_div_fmas_f32 v8, v8, v32, v23
	v_add_f32_e32 v10, v49, v10
	v_fmac_f32_e32 v20, v26, v20
	v_fma_f32 v19, -v19, v27, v42
	s_mov_b32 vcc_lo, s5
	v_div_fixup_f32 v8, v8, v16, v22
	v_mov_b32_dpp v22, v10 quad_perm:[1,0,3,2] row_mask:0xf bank_mask:0xf
	v_mul_f32_e32 v18, v48, v51
	s_delay_alu instid0(VALU_DEP_1) | instskip(NEXT) | instid1(VALU_DEP_1)
	v_fma_f32 v11, -v43, v18, v48
	v_dual_fmac_f32 v18, v11, v51 :: v_dual_sub_f32 v11, v12, v14
	v_mul_f32_e32 v50, v40, v20
	v_mul_f32_e32 v26, v35, v41
	s_delay_alu instid0(VALU_DEP_3) | instskip(NEXT) | instid1(VALU_DEP_3)
	v_mul_f32_e32 v23, v11, v11
	v_fma_f32 v46, -v31, v50, v40
	s_delay_alu instid0(VALU_DEP_1) | instskip(NEXT) | instid1(VALU_DEP_1)
	v_fmac_f32_e32 v50, v46, v20
	v_fma_f32 v31, -v31, v50, v40
	s_delay_alu instid0(VALU_DEP_1)
	v_div_fmas_f32 v12, v31, v20, v50
	s_mov_b32 vcc_lo, s7
	v_mul_f32_e32 v31, 4.0, v11
	v_fma_f32 v53, -v33, v26, v35
	v_div_fmas_f32 v19, v19, v45, v27
	s_mov_b32 vcc_lo, s4
	v_div_fixup_f32 v12, v12, v15, v17
	s_delay_alu instid0(VALU_DEP_3) | instskip(NEXT) | instid1(VALU_DEP_3)
	v_dual_mul_f32 v27, v15, v11 :: v_dual_fmac_f32 v26, v53, v41
	v_div_fixup_f32 v4, v19, v29, v4
	v_mul_f32_e32 v19, v11, v23
	v_mul_f32_e32 v30, 0x40400000, v11
	s_delay_alu instid0(VALU_DEP_4) | instskip(NEXT) | instid1(VALU_DEP_3)
	v_fma_f32 v33, -v33, v26, v35
	v_dual_add_f32 v4, v5, v4 :: v_dual_mul_f32 v5, v11, v19
	s_delay_alu instid0(VALU_DEP_2) | instskip(SKIP_1) | instid1(VALU_DEP_2)
	v_div_fmas_f32 v17, v33, v41, v26
	s_mov_b32 vcc_lo, s8
	v_mul_f32_e32 v5, v5, v25
	v_fma_f32 v20, -v43, v18, v48
	v_mul_f32_e32 v33, v15, v22
	s_delay_alu instid0(VALU_DEP_3) | instskip(NEXT) | instid1(VALU_DEP_3)
	v_mul_f32_e32 v5, v15, v5
	v_div_fmas_f32 v18, v20, v51, v18
	v_div_scale_f32 v20, null, v3, v3, v27
	v_div_scale_f32 v26, vcc_lo, v27, v3, v27
	s_delay_alu instid0(VALU_DEP_3)
	v_div_fixup_f32 v1, v18, v15, v1
	v_dual_mul_f32 v32, v23, v25 :: v_dual_mul_f32 v23, 0x40c00000, v23
	v_add_f32_e32 v29, v10, v22
	v_mul_f32_e32 v22, v16, v22
	v_div_fixup_f32 v16, v17, v16, v21
	v_mul_f32_e32 v17, v19, v25
	v_rcp_f32_e32 v11, v20
	v_fma_f32 v18, v10, v25, -v33
	s_delay_alu instid0(VALU_DEP_3) | instskip(NEXT) | instid1(VALU_DEP_3)
	v_dual_mul_f32 v5, v38, v5 :: v_dual_add_f32 v4, v16, v4
	v_mul_f32_e32 v17, v15, v17
	v_add_f32_e32 v8, v39, v8
	v_fmac_f32_e32 v22, v10, v63
	s_delay_alu instid0(VALU_DEP_4) | instskip(NEXT) | instid1(VALU_DEP_3)
	v_div_scale_f32 v40, s6, v5, v36, v5
	v_dual_mul_f32 v17, v34, v17 :: v_dual_add_f32 v8, v12, v8
	s_delay_alu instid0(VALU_DEP_3)
	v_mul_f32_e32 v21, v23, v22
	v_add_f32_e32 v1, v1, v4
	v_fma_f32 v4, -v20, v11, 1.0
	v_mul_f32_e32 v18, v30, v18
	v_mov_b32_dpp v10, v8 quad_perm:[1,0,3,2] row_mask:0xf bank_mask:0xf
	v_mul_f32_e32 v12, v15, v32
	v_div_scale_f32 v33, null, v13, v13, v21
	v_fmac_f32_e32 v11, v4, v11
	s_delay_alu instid0(VALU_DEP_4) | instskip(NEXT) | instid1(VALU_DEP_4)
	v_add_f32_e32 v23, v8, v10
	v_div_scale_f32 v16, null, v3, v3, v12
	v_div_scale_f32 v4, null, v13, v13, v17
	v_rcp_f32_e32 v38, v33
	s_delay_alu instid0(VALU_DEP_2) | instskip(SKIP_1) | instid1(VALU_DEP_2)
	v_rcp_f32_e32 v22, v16
	v_div_scale_f32 v30, null, v3, v3, v18
	v_rcp_f32_e32 v39, v4
	v_mul_f32_e32 v10, v15, v10
	v_mov_b32_dpp v15, v1 quad_perm:[1,0,3,2] row_mask:0xf bank_mask:0xf
	s_delay_alu instid0(VALU_DEP_3) | instskip(SKIP_2) | instid1(VALU_DEP_3)
	v_rcp_f32_e32 v37, v30
	v_div_scale_f32 v19, s2, v12, v3, v12
	v_fma_f32 v42, -v33, v38, 1.0
	v_add_f32_e32 v1, v1, v15
	v_fma_f32 v8, v8, v25, -v10
	v_fma_f32 v25, -v16, v22, 1.0
	s_delay_alu instid0(TRANS32_DEP_2) | instskip(SKIP_3) | instid1(VALU_DEP_4)
	v_fma_f32 v45, -v4, v39, 1.0
	v_div_scale_f32 v35, s5, v17, v13, v17
	v_fmac_f32_e32 v38, v42, v38
	v_div_scale_f32 v15, null, v36, v36, v5
	v_fmac_f32_e32 v39, v45, v39
	v_fmac_f32_e32 v22, v25, v22
	v_mul_f32_e32 v10, v26, v11
	v_fma_f32 v25, -v30, v37, 1.0
	v_mul_f32_e32 v8, v31, v8
	v_rcp_f32_e32 v41, v15
	v_div_scale_f32 v32, s3, v18, v3, v18
	s_delay_alu instid0(VALU_DEP_3) | instskip(SKIP_3) | instid1(VALU_DEP_3)
	v_fmac_f32_e32 v37, v25, v37
	v_fma_f32 v31, -v20, v10, v26
	v_div_scale_f32 v34, s4, v21, v13, v21
	v_div_scale_f32 v43, null, v3, v3, v8
	v_fmac_f32_e32 v10, v31, v11
	s_delay_alu instid0(TRANS32_DEP_1) | instskip(NEXT) | instid1(VALU_DEP_4)
	v_fma_f32 v45, -v15, v41, 1.0
	v_mul_f32_e32 v46, v34, v38
	s_delay_alu instid0(VALU_DEP_4) | instskip(SKIP_1) | instid1(VALU_DEP_3)
	v_rcp_f32_e32 v25, v43
	v_div_scale_f32 v44, s7, v8, v3, v8
	v_fmac_f32_e32 v41, v45, v41
	v_fma_f32 v20, -v20, v10, v26
	s_delay_alu instid0(VALU_DEP_1) | instskip(SKIP_3) | instid1(TRANS32_DEP_1)
	v_div_fmas_f32 v10, v20, v11, v10
	v_mul_f32_e32 v11, v35, v39
	v_mul_f32_e32 v31, v19, v22
	s_mov_b32 vcc_lo, s2
	v_fma_f32 v45, -v43, v25, 1.0
	v_div_fixup_f32 v10, v10, v3, v27
	s_delay_alu instid0(VALU_DEP_3) | instskip(NEXT) | instid1(VALU_DEP_2)
	v_fma_f32 v26, -v16, v31, v19
	v_dual_fmac_f32 v25, v45, v25 :: v_dual_add_f32 v10, v10, v14
	s_delay_alu instid0(VALU_DEP_2) | instskip(SKIP_1) | instid1(VALU_DEP_2)
	v_fmac_f32_e32 v31, v26, v22
	v_fma_f32 v26, -v33, v46, v34
	v_fma_f32 v16, -v16, v31, v19
	;; [unrolled: 1-line block ×3, first 2 shown]
	v_mul_f32_e32 v42, v32, v37
	s_delay_alu instid0(VALU_DEP_4) | instskip(NEXT) | instid1(VALU_DEP_4)
	v_fmac_f32_e32 v46, v26, v38
	v_div_fmas_f32 v14, v16, v22, v31
	s_delay_alu instid0(VALU_DEP_4) | instskip(NEXT) | instid1(VALU_DEP_4)
	v_fmac_f32_e32 v11, v19, v39
	v_fma_f32 v20, -v30, v42, v32
	s_mov_b32 vcc_lo, s5
	v_fma_f32 v26, -v33, v46, v34
	v_div_fixup_f32 v12, v14, v3, v12
	v_fma_f32 v4, -v4, v11, v35
	v_fmac_f32_e32 v42, v20, v37
	v_mul_f32_e32 v20, v40, v41
	s_delay_alu instid0(VALU_DEP_4) | instskip(NEXT) | instid1(VALU_DEP_4)
	v_add_f32_e32 v12, v29, v12
	v_div_fmas_f32 v4, v4, v39, v11
	s_mov_b32 vcc_lo, s3
	s_delay_alu instid0(VALU_DEP_3) | instskip(NEXT) | instid1(VALU_DEP_2)
	v_fma_f32 v19, -v15, v20, v40
	v_div_fixup_f32 v4, v4, v13, v17
	s_delay_alu instid0(VALU_DEP_2) | instskip(SKIP_1) | instid1(VALU_DEP_3)
	v_fmac_f32_e32 v20, v19, v41
	v_mov_b32_dpp v19, v10 quad_perm:[2,3,0,1] row_mask:0xf bank_mask:0xf
	v_add_f32_e32 v4, v23, v4
	s_delay_alu instid0(VALU_DEP_2) | instskip(NEXT) | instid1(VALU_DEP_1)
	v_sub_f32_e32 v10, v10, v19
	v_mul_f32_e32 v17, v10, v10
	v_fma_f32 v16, -v30, v42, v32
	s_delay_alu instid0(VALU_DEP_2) | instskip(NEXT) | instid1(VALU_DEP_1)
	v_dual_mul_f32 v23, v17, v24 :: v_dual_mul_f32 v22, v44, v25
	v_mul_f32_e32 v23, v3, v23
	s_delay_alu instid0(VALU_DEP_2) | instskip(NEXT) | instid1(VALU_DEP_2)
	v_fma_f32 v14, -v43, v22, v44
	v_div_scale_f32 v31, s2, v23, v2, v23
	s_delay_alu instid0(VALU_DEP_2) | instskip(SKIP_3) | instid1(VALU_DEP_2)
	v_fmac_f32_e32 v22, v14, v25
	v_div_fmas_f32 v14, v16, v37, v42
	v_mov_b32_dpp v16, v12 quad_perm:[2,3,0,1] row_mask:0xf bank_mask:0xf
	s_mov_b32 vcc_lo, s6
	v_div_fixup_f32 v14, v14, v3, v18
	s_delay_alu instid0(VALU_DEP_2) | instskip(SKIP_2) | instid1(VALU_DEP_2)
	v_add_f32_e32 v29, v12, v16
	v_fma_f32 v11, -v15, v20, v40
	v_fma_f32 v15, -v43, v22, v44
	v_div_fmas_f32 v11, v11, v41, v20
	s_mov_b32 vcc_lo, s4
	v_div_fmas_f32 v18, v26, v38, v46
	s_mov_b32 vcc_lo, s7
	s_delay_alu instid0(VALU_DEP_2) | instskip(SKIP_1) | instid1(VALU_DEP_3)
	v_div_fixup_f32 v5, v11, v36, v5
	v_div_fmas_f32 v15, v15, v25, v22
	v_div_fixup_f32 v18, v18, v13, v21
	s_delay_alu instid0(VALU_DEP_3) | instskip(SKIP_1) | instid1(VALU_DEP_4)
	v_add_f32_e32 v1, v1, v5
	v_mul_f32_e32 v22, v10, v17
	v_div_fixup_f32 v8, v15, v3, v8
	v_div_scale_f32 v5, null, v2, v2, v23
	s_delay_alu instid0(VALU_DEP_4) | instskip(NEXT) | instid1(VALU_DEP_4)
	v_dual_mul_f32 v30, v3, v16 :: v_dual_add_f32 v1, v18, v1
	v_mul_f32_e32 v15, v10, v22
	v_mul_f32_e32 v27, 0x40400000, v10
	;; [unrolled: 1-line block ×4, first 2 shown]
	s_delay_alu instid0(VALU_DEP_4) | instskip(NEXT) | instid1(VALU_DEP_1)
	v_mul_f32_e32 v15, v15, v24
	v_mul_f32_e32 v15, v3, v15
	v_dual_mul_f32 v20, v3, v10 :: v_dual_mul_f32 v21, v22, v24
	v_add_f32_e32 v4, v14, v4
	v_rcp_f32_e32 v22, v5
	v_mul_f32_e32 v10, 4.0, v10
	s_delay_alu instid0(VALU_DEP_3) | instskip(SKIP_2) | instid1(VALU_DEP_3)
	v_div_scale_f32 v11, null, v2, v2, v20
	v_mul_f32_e32 v21, v3, v21
	v_div_scale_f32 v26, vcc_lo, v20, v2, v20
	v_rcp_f32_e32 v25, v11
	v_mov_b32_dpp v18, v4 quad_perm:[2,3,0,1] row_mask:0xf bank_mask:0xf
	s_delay_alu instid0(VALU_DEP_3) | instskip(SKIP_3) | instid1(VALU_DEP_1)
	v_mul_f32_e32 v21, v62, v21
	v_fmac_f32_e32 v13, v67, v12
	s_waitcnt_depctr 0xfff
	v_fma_f32 v14, -v11, v25, 1.0
	v_fmac_f32_e32 v25, v14, v25
	v_fma_f32 v14, v12, v24, -v30
	s_delay_alu instid0(VALU_DEP_1) | instskip(SKIP_3) | instid1(VALU_DEP_3)
	v_mul_f32_e32 v14, v27, v14
	v_fma_f32 v27, -v5, v22, 1.0
	v_add_f32_e32 v1, v8, v1
	v_div_scale_f32 v8, null, v7, v7, v21
	v_fmac_f32_e32 v22, v27, v22
	v_mul_f32_e32 v30, v26, v25
	s_delay_alu instid0(VALU_DEP_4) | instskip(NEXT) | instid1(VALU_DEP_3)
	v_mov_b32_dpp v27, v1 quad_perm:[2,3,0,1] row_mask:0xf bank_mask:0xf
	v_mul_f32_e32 v33, v31, v22
	s_delay_alu instid0(VALU_DEP_3) | instskip(NEXT) | instid1(VALU_DEP_1)
	v_fma_f32 v32, -v11, v30, v26
	v_dual_add_f32 v1, v1, v27 :: v_dual_fmac_f32 v30, v32, v25
	v_rcp_f32_e32 v32, v8
	s_delay_alu instid0(VALU_DEP_1) | instskip(SKIP_1) | instid1(VALU_DEP_2)
	v_fma_f32 v11, -v11, v30, v26
	v_div_scale_f32 v26, null, v2, v2, v14
	v_div_fmas_f32 v11, v11, v25, v30
	v_fma_f32 v30, -v5, v33, v31
	v_fmac_f32_e32 v76, v3, v3
	s_waitcnt_depctr 0xfff
	v_fma_f32 v34, -v8, v32, 1.0
	v_div_scale_f32 v25, s3, v21, v7, v21
	v_fmac_f32_e32 v33, v30, v22
	s_delay_alu instid0(VALU_DEP_3) | instskip(SKIP_2) | instid1(VALU_DEP_3)
	v_dual_mul_f32 v15, v76, v15 :: v_dual_fmac_f32 v32, v34, v32
	v_div_fixup_f32 v11, v11, v2, v20
	v_rcp_f32_e32 v20, v26
	v_fma_f32 v5, -v5, v33, v31
	s_delay_alu instid0(VALU_DEP_3) | instskip(NEXT) | instid1(VALU_DEP_3)
	v_dual_mul_f32 v3, v3, v18 :: v_dual_mul_f32 v16, v25, v32
	v_add_f32_e32 v11, v11, v19
	v_div_scale_f32 v19, null, v28, v28, v15
	s_delay_alu instid0(VALU_DEP_3) | instskip(NEXT) | instid1(VALU_DEP_4)
	v_fma_f32 v3, v4, v24, -v3
	v_fma_f32 v12, -v8, v16, v25
	v_add_f32_e32 v4, v4, v18
	s_delay_alu instid0(TRANS32_DEP_1) | instskip(SKIP_1) | instid1(VALU_DEP_3)
	v_fma_f32 v30, -v26, v20, 1.0
	v_rcp_f32_e32 v31, v19
	v_dual_mul_f32 v13, v17, v13 :: v_dual_fmac_f32 v16, v12, v32
	s_mov_b32 vcc_lo, s2
	s_delay_alu instid0(VALU_DEP_2)
	v_fmac_f32_e32 v20, v30, v20
	v_div_fmas_f32 v5, v5, v22, v33
	v_div_scale_f32 v17, s2, v14, v2, v14
	v_div_scale_f32 v30, null, v7, v7, v13
	s_waitcnt_depctr 0xfff
	v_fma_f32 v22, -v19, v31, 1.0
	v_mul_f32_e32 v12, v17, v20
	v_div_scale_f32 v24, s4, v15, v28, v15
	v_fma_f32 v8, -v8, v16, v25
	s_delay_alu instid0(VALU_DEP_4)
	v_fmac_f32_e32 v31, v22, v31
	v_rcp_f32_e32 v22, v30
	v_fma_f32 v18, -v26, v12, v17
	s_mov_b32 vcc_lo, s3
	v_div_fixup_f32 v5, v5, v2, v23
	v_div_fmas_f32 v8, v8, v32, v16
	s_mov_b32 vcc_lo, s2
	v_fmac_f32_e32 v12, v18, v20
	s_delay_alu instid0(VALU_DEP_2)
	v_div_fixup_f32 v8, v8, v7, v21
	s_waitcnt_depctr 0xfff
	v_fma_f32 v25, -v30, v22, 1.0
	v_mul_f32_e32 v3, v10, v3
	v_fma_f32 v16, -v26, v12, v17
	v_mov_b32_dpp v26, v2 row_ror:4 row_mask:0xf bank_mask:0xf
	v_add_f32_e32 v4, v4, v8
	v_fmac_f32_e32 v22, v25, v22
	v_div_scale_f32 v25, s5, v13, v7, v13
	v_mul_f32_e32 v10, v24, v31
	v_div_fmas_f32 v12, v16, v20, v12
	s_mov_b32 vcc_lo, s4
	s_delay_alu instid0(VALU_DEP_3) | instskip(SKIP_3) | instid1(VALU_DEP_4)
	v_mul_f32_e32 v17, v25, v22
	v_div_scale_f32 v18, null, v2, v2, v3
	v_fma_f32 v33, -v19, v10, v24
	v_div_fixup_f32 v8, v12, v2, v14
	v_fma_f32 v20, -v30, v17, v25
	s_delay_alu instid0(VALU_DEP_4)
	v_rcp_f32_e32 v34, v18
	v_add_f32_e32 v5, v29, v5
	v_fmac_f32_e32 v10, v33, v31
	v_add_f32_e32 v4, v8, v4
	v_mov_b32_dpp v14, v6 row_ror:4 row_mask:0xf bank_mask:0xf
	v_mul_f32_e32 v29, v26, v26
	s_delay_alu instid0(VALU_DEP_4) | instskip(SKIP_2) | instid1(TRANS32_DEP_1)
	v_fma_f32 v19, -v19, v10, v24
	v_mov_b32_dpp v24, v11 row_ror:4 row_mask:0xf bank_mask:0xf
	v_mov_b32_dpp v23, v4 row_ror:4 row_mask:0xf bank_mask:0xf
	v_fma_f32 v16, -v18, v34, 1.0
	v_fma_f32 v32, -v2, v26, v29
	s_delay_alu instid0(VALU_DEP_4)
	v_sub_f32_e32 v11, v11, v24
	v_div_fmas_f32 v10, v19, v31, v10
	v_fmac_f32_e32 v17, v20, v22
	v_add_f32_e32 v19, v2, v26
	s_mov_b32 vcc_lo, s5
	v_mul_f32_e32 v20, v2, v11
	v_div_fixup_f32 v10, v10, v28, v15
	v_fma_f32 v15, -v30, v17, v25
	v_fmac_f32_e32 v32, v2, v2
	s_delay_alu instid0(VALU_DEP_4) | instskip(NEXT) | instid1(VALU_DEP_3)
	v_div_scale_f32 v25, null, v19, v19, v20
	v_div_fmas_f32 v15, v15, v22, v17
	v_add_f32_e32 v1, v1, v10
	s_delay_alu instid0(VALU_DEP_3) | instskip(NEXT) | instid1(VALU_DEP_2)
	v_rcp_f32_e32 v17, v25
	v_div_fixup_f32 v10, v15, v7, v13
	v_fmac_f32_e32 v34, v16, v34
	v_div_scale_f32 v16, s2, v3, v2, v3
	v_mul_f32_e32 v13, v11, v11
	s_delay_alu instid0(VALU_DEP_4) | instskip(SKIP_2) | instid1(TRANS32_DEP_1)
	v_add_f32_e32 v1, v10, v1
	s_mov_b32 vcc_lo, s2
	v_cmp_gt_f32_e64 s2, v6, v14
	v_fma_f32 v10, -v25, v17, 1.0
	v_mul_f32_e32 v22, v11, v13
	s_delay_alu instid0(VALU_DEP_3) | instskip(NEXT) | instid1(VALU_DEP_3)
	v_cndmask_b32_e64 v6, v14, v6, s2
	v_fmac_f32_e32 v17, v10, v17
	v_mul_f32_e32 v27, v16, v34
	s_delay_alu instid0(VALU_DEP_1) | instskip(NEXT) | instid1(VALU_DEP_1)
	v_fma_f32 v28, -v18, v27, v16
	v_fmac_f32_e32 v27, v28, v34
	s_delay_alu instid0(VALU_DEP_1) | instskip(NEXT) | instid1(VALU_DEP_1)
	v_fma_f32 v12, -v18, v27, v16
	v_div_fmas_f32 v12, v12, v34, v27
	v_div_scale_f32 v10, vcc_lo, v20, v19, v20
	s_delay_alu instid0(VALU_DEP_2) | instskip(NEXT) | instid1(VALU_DEP_2)
	v_div_fixup_f32 v3, v12, v2, v3
	v_mul_f32_e32 v8, v10, v17
	s_delay_alu instid0(VALU_DEP_1) | instskip(NEXT) | instid1(VALU_DEP_1)
	v_fma_f32 v15, -v25, v8, v10
	v_fmac_f32_e32 v8, v15, v17
	s_delay_alu instid0(VALU_DEP_1) | instskip(SKIP_3) | instid1(VALU_DEP_4)
	v_fma_f32 v10, -v25, v8, v10
	v_mul_f32_e32 v25, v11, v22
	v_mul_f32_e32 v22, v22, v26
	;; [unrolled: 1-line block ×3, first 2 shown]
	v_div_fmas_f32 v8, v10, v17, v8
	s_delay_alu instid0(VALU_DEP_3)
	v_mul_f32_e32 v17, v2, v22
	v_sub_f32_e32 v22, v26, v2
	v_mov_b32_dpp v18, v5 row_ror:4 row_mask:0xf bank_mask:0xf
	v_add_f32_e32 v1, v3, v1
	v_mul_f32_e32 v21, v19, v19
	v_mul_f32_e32 v3, v2, v12
	v_mov_b32_dpp v12, v9 row_ror:4 row_mask:0xf bank_mask:0xf
	v_div_fixup_f32 v8, v8, v19, v20
	v_mul_f32_e32 v7, v7, v18
	v_mul_f32_e32 v28, v19, v21
	v_div_scale_f32 v16, null, v19, v19, v3
	v_cmp_lt_f32_e32 vcc_lo, v9, v12
	v_add_f32_e32 v8, v8, v24
	s_delay_alu instid0(VALU_DEP_3) | instskip(SKIP_2) | instid1(VALU_DEP_1)
	v_rcp_f32_e32 v15, v16
	s_waitcnt_depctr 0xfff
	v_fma_f32 v10, -v16, v15, 1.0
	v_fmac_f32_e32 v15, v10, v15
	v_dual_cndmask_b32 v9, v12, v9 :: v_dual_mul_f32 v12, v2, v18
	v_mul_f32_e32 v10, v22, v17
	v_div_scale_f32 v17, vcc_lo, v3, v19, v3
	v_mul_f32_e32 v22, 0x40400000, v11
	s_delay_alu instid0(VALU_DEP_4) | instskip(NEXT) | instid1(VALU_DEP_4)
	v_fma_f32 v12, v5, v26, -v12
	v_div_scale_f32 v20, null, v21, v21, v10
	s_delay_alu instid0(VALU_DEP_4) | instskip(NEXT) | instid1(VALU_DEP_3)
	v_mul_f32_e32 v14, v17, v15
	v_dual_mul_f32 v25, v25, v26 :: v_dual_mul_f32 v12, v22, v12
	s_delay_alu instid0(VALU_DEP_3) | instskip(SKIP_1) | instid1(VALU_DEP_3)
	v_rcp_f32_e32 v24, v20
	v_add_f32_e32 v22, v5, v18
	v_fma_f32 v30, -v16, v14, v17
	s_delay_alu instid0(VALU_DEP_3) | instskip(SKIP_2) | instid1(VALU_DEP_3)
	v_mul_f32_e32 v25, v2, v25
	v_div_scale_f32 v31, null, v19, v19, v12
	v_mul_f32_e32 v2, v2, v23
	v_dual_fmac_f32 v14, v30, v15 :: v_dual_mul_f32 v25, v32, v25
	s_delay_alu instid0(VALU_DEP_3) | instskip(NEXT) | instid1(TRANS32_DEP_2)
	v_rcp_f32_e32 v33, v31
	v_fma_f32 v30, -v20, v24, 1.0
	v_fmac_f32_e32 v7, v29, v5
	s_delay_alu instid0(VALU_DEP_3) | instskip(SKIP_3) | instid1(VALU_DEP_4)
	v_fma_f32 v16, -v16, v14, v17
	v_div_scale_f32 v17, s2, v10, v21, v10
	v_mul_f32_e32 v11, 4.0, v11
	v_fma_f32 v2, v4, v26, -v2
	v_div_fmas_f32 v14, v16, v15, v14
	v_mul_f32_e32 v13, 0x40c00000, v13
	s_delay_alu instid0(TRANS32_DEP_1) | instskip(SKIP_3) | instid1(VALU_DEP_4)
	v_fma_f32 v16, -v31, v33, 1.0
	v_fmac_f32_e32 v24, v30, v24
	v_div_scale_f32 v30, null, v28, v28, v25
	v_div_fixup_f32 v3, v14, v19, v3
	v_fmac_f32_e32 v33, v16, v33
	s_delay_alu instid0(VALU_DEP_4) | instskip(NEXT) | instid1(VALU_DEP_4)
	v_mul_f32_e32 v15, v17, v24
	v_rcp_f32_e32 v16, v30
	v_mul_f32_e32 v2, v11, v2
	v_add_f32_e32 v4, v4, v23
	v_mul_f32_e32 v7, v13, v7
	v_fma_f32 v14, -v20, v15, v17
	s_mov_b32 vcc_lo, s2
	v_mov_b32_dpp v27, v1 row_ror:4 row_mask:0xf bank_mask:0xf
	v_div_scale_f32 v18, s3, v12, v19, v12
	s_delay_alu instid0(TRANS32_DEP_1) | instskip(NEXT) | instid1(VALU_DEP_1)
	v_fma_f32 v13, -v30, v16, 1.0
	v_fmac_f32_e32 v16, v13, v16
	v_mov_b32_dpp v29, v19 row_ror:8 row_mask:0xf bank_mask:0xf
	v_fmac_f32_e32 v15, v14, v24
	v_div_scale_f32 v14, null, v21, v21, v7
	v_div_scale_f32 v13, s4, v25, v28, v25
	v_add_f32_e32 v3, v22, v3
	s_delay_alu instid0(VALU_DEP_4) | instskip(NEXT) | instid1(VALU_DEP_4)
	v_fma_f32 v17, -v20, v15, v17
	v_rcp_f32_e32 v11, v14
	v_div_scale_f32 v22, null, v19, v19, v2
	s_delay_alu instid0(VALU_DEP_2) | instskip(SKIP_1) | instid1(VALU_DEP_2)
	v_div_fmas_f32 v15, v17, v24, v15
	s_mov_b32 vcc_lo, s3
	v_rcp_f32_e32 v17, v22
	s_delay_alu instid0(VALU_DEP_1) | instskip(SKIP_3) | instid1(VALU_DEP_2)
	v_div_fixup_f32 v10, v15, v21, v10
	s_waitcnt_depctr 0xfff
	v_fma_f32 v24, -v14, v11, 1.0
	v_dual_add_f32 v1, v1, v27 :: v_dual_add_f32 v4, v4, v10
	v_fmac_f32_e32 v11, v24, v11
	v_fma_f32 v24, -v22, v17, 1.0
	s_delay_alu instid0(VALU_DEP_1) | instskip(SKIP_1) | instid1(VALU_DEP_1)
	v_fmac_f32_e32 v17, v24, v17
	v_mov_b32_dpp v24, v8 row_ror:8 row_mask:0xf bank_mask:0xf
	v_dual_mul_f32 v5, v18, v33 :: v_dual_sub_f32 v8, v8, v24
	s_delay_alu instid0(VALU_DEP_1) | instskip(NEXT) | instid1(VALU_DEP_1)
	v_fma_f32 v20, -v31, v5, v18
	v_dual_fmac_f32 v5, v20, v33 :: v_dual_mul_f32 v20, v13, v16
	s_delay_alu instid0(VALU_DEP_1) | instskip(NEXT) | instid1(VALU_DEP_2)
	v_fma_f32 v15, -v31, v5, v18
	v_fma_f32 v18, -v30, v20, v13
	s_delay_alu instid0(VALU_DEP_2) | instskip(NEXT) | instid1(VALU_DEP_2)
	v_div_fmas_f32 v5, v15, v33, v5
	v_fmac_f32_e32 v20, v18, v16
	v_div_scale_f32 v23, s2, v7, v21, v7
	s_mov_b32 vcc_lo, s4
	s_delay_alu instid0(VALU_DEP_3) | instskip(NEXT) | instid1(VALU_DEP_3)
	v_div_fixup_f32 v5, v5, v19, v12
	v_fma_f32 v13, -v30, v20, v13
	v_div_scale_f32 v18, s3, v2, v19, v2
	s_delay_alu instid0(VALU_DEP_3) | instskip(NEXT) | instid1(VALU_DEP_3)
	v_dual_add_f32 v4, v5, v4 :: v_dual_mul_f32 v15, v23, v11
	v_div_fmas_f32 v13, v13, v16, v20
	s_mov_b32 vcc_lo, s2
	v_add_f32_e32 v16, v19, v29
	v_mul_f32_e32 v20, v19, v8
	v_fma_f32 v26, -v14, v15, v23
	v_div_fixup_f32 v13, v13, v28, v25
	s_delay_alu instid0(VALU_DEP_2) | instskip(NEXT) | instid1(VALU_DEP_2)
	v_fmac_f32_e32 v15, v26, v11
	v_add_f32_e32 v1, v1, v13
	s_delay_alu instid0(VALU_DEP_2) | instskip(SKIP_1) | instid1(VALU_DEP_2)
	v_fma_f32 v14, -v14, v15, v23
	v_div_scale_f32 v23, null, v16, v16, v20
	v_div_fmas_f32 v11, v14, v11, v15
	s_delay_alu instid0(VALU_DEP_2) | instskip(SKIP_1) | instid1(VALU_DEP_1)
	v_rcp_f32_e32 v14, v23
	s_mov_b32 vcc_lo, s3
	v_div_fixup_f32 v7, v11, v21, v7
	v_mul_f32_e32 v11, v8, v8
	v_mul_f32_e32 v27, v18, v17
	s_delay_alu instid0(VALU_DEP_3) | instskip(SKIP_3) | instid1(VALU_DEP_1)
	v_add_f32_e32 v1, v7, v1
	s_waitcnt_depctr 0xfff
	v_fma_f32 v12, -v23, v14, 1.0
	v_fma_f32 v26, -v22, v27, v18
	v_dual_fmac_f32 v14, v12, v14 :: v_dual_fmac_f32 v27, v26, v17
	v_mov_b32_dpp v26, v4 row_ror:8 row_mask:0xf bank_mask:0xf
	s_delay_alu instid0(VALU_DEP_2) | instskip(SKIP_1) | instid1(VALU_DEP_2)
	v_fma_f32 v10, -v22, v27, v18
	v_mul_f32_e32 v18, v8, v11
	v_div_fmas_f32 v10, v10, v17, v27
	v_div_scale_f32 v7, vcc_lo, v20, v16, v20
	v_mul_f32_e32 v17, v16, v16
	s_delay_alu instid0(VALU_DEP_3) | instskip(NEXT) | instid1(VALU_DEP_3)
	v_div_fixup_f32 v2, v10, v19, v2
	v_mul_f32_e32 v12, v7, v14
	v_mov_b32_dpp v10, v6 row_ror:8 row_mask:0xf bank_mask:0xf
	s_delay_alu instid0(VALU_DEP_3) | instskip(NEXT) | instid1(VALU_DEP_3)
	v_add_f32_e32 v1, v2, v1
	v_fma_f32 v22, -v23, v12, v7
	s_delay_alu instid0(VALU_DEP_1) | instskip(SKIP_3) | instid1(VALU_DEP_4)
	v_fmac_f32_e32 v12, v22, v14
	v_mul_f32_e32 v22, v8, v18
	v_mul_f32_e32 v18, v18, v29
	;; [unrolled: 1-line block ×3, first 2 shown]
	v_fma_f32 v7, -v23, v12, v7
	s_delay_alu instid0(VALU_DEP_3) | instskip(NEXT) | instid1(VALU_DEP_3)
	v_dual_sub_f32 v23, v29, v19 :: v_dual_mul_f32 v18, v19, v18
	v_mul_f32_e32 v2, v19, v5
	v_mov_b32_dpp v5, v9 row_ror:8 row_mask:0xf bank_mask:0xf
	v_mov_b32_dpp v15, v3 row_ror:8 row_mask:0xf bank_mask:0xf
	v_div_fmas_f32 v7, v7, v14, v12
	v_mul_f32_e32 v22, v22, v29
	v_div_scale_f32 v13, null, v16, v16, v2
	v_cmp_lt_f32_e64 s2, v9, v5
	v_mul_f32_e32 v12, v19, v15
	v_div_fixup_f32 v7, v7, v16, v20
	s_delay_alu instid0(VALU_DEP_4)
	v_rcp_f32_e32 v25, v13
	v_mul_f32_e32 v20, v29, v29
	v_mul_f32_e32 v28, v16, v17
	v_cndmask_b32_e64 v5, v5, v9, s2
	v_div_scale_f32 v14, vcc_lo, v2, v16, v2
	v_fma_f32 v12, v3, v29, -v12
	v_add_f32_e32 v7, v7, v24
	v_mov_b32_dpp v27, v1 row_ror:8 row_mask:0xf bank_mask:0xf
	s_delay_alu instid0(TRANS32_DEP_1) | instskip(NEXT) | instid1(VALU_DEP_2)
	v_fma_f32 v9, -v13, v25, 1.0
	v_add_f32_e32 v1, v1, v27
	s_delay_alu instid0(VALU_DEP_2) | instskip(SKIP_3) | instid1(VALU_DEP_2)
	v_fmac_f32_e32 v25, v9, v25
	v_mul_f32_e32 v9, v23, v18
	v_mul_f32_e32 v23, 0x40400000, v8
	v_mul_f32_e32 v8, 4.0, v8
	v_mul_f32_e32 v12, v23, v12
	v_mul_f32_e32 v30, v14, v25
	v_div_scale_f32 v18, null, v17, v17, v9
	v_fma_f32 v23, -v19, v29, v20
	s_delay_alu instid0(VALU_DEP_4) | instskip(NEXT) | instid1(VALU_DEP_3)
	v_div_scale_f32 v33, null, v16, v16, v12
	v_rcp_f32_e32 v31, v18
	v_fma_f32 v32, -v13, v30, v14
	s_delay_alu instid0(VALU_DEP_1) | instskip(NEXT) | instid1(VALU_DEP_3)
	v_dual_fmac_f32 v23, v19, v19 :: v_dual_fmac_f32 v30, v32, v25
	v_rcp_f32_e32 v32, v33
	s_waitcnt_depctr 0xfff
	v_fma_f32 v24, -v18, v31, 1.0
	v_mul_f32_e32 v22, v19, v22
	v_fma_f32 v13, -v13, v30, v14
	v_mul_f32_e32 v19, v19, v26
	s_delay_alu instid0(VALU_DEP_3)
	v_dual_fmac_f32 v31, v24, v31 :: v_dual_mul_f32 v22, v23, v22
	v_add_f32_e32 v23, v3, v15
	v_mul_f32_e32 v15, v21, v15
	v_fma_f32 v24, -v33, v32, 1.0
	v_div_scale_f32 v21, s2, v9, v17, v9
	v_div_scale_f32 v14, null, v28, v28, v22
	s_delay_alu instid0(VALU_DEP_3) | instskip(SKIP_1) | instid1(VALU_DEP_3)
	v_dual_fmac_f32 v32, v24, v32 :: v_dual_mul_f32 v11, 0x40c00000, v11
	v_fmac_f32_e32 v15, v20, v3
	v_rcp_f32_e32 v34, v14
	v_div_fmas_f32 v3, v13, v25, v30
	v_fma_f32 v19, v4, v29, -v19
	s_delay_alu instid0(VALU_DEP_3) | instskip(SKIP_1) | instid1(VALU_DEP_4)
	v_dual_add_f32 v4, v4, v26 :: v_dual_mul_f32 v11, v11, v15
	v_div_scale_f32 v15, s3, v12, v16, v12
	v_div_fixup_f32 v2, v3, v16, v2
	s_mov_b32 vcc_lo, s2
	s_delay_alu instid0(VALU_DEP_3) | instskip(NEXT) | instid1(TRANS32_DEP_1)
	v_div_scale_f32 v24, null, v17, v17, v11
	v_fma_f32 v20, -v14, v34, 1.0
	v_mul_f32_e32 v30, v15, v32
	v_add_f32_e32 v2, v23, v2
	v_div_scale_f32 v29, s4, v22, v28, v22
	s_delay_alu instid0(VALU_DEP_4) | instskip(SKIP_3) | instid1(VALU_DEP_1)
	v_fmac_f32_e32 v34, v20, v34
	v_rcp_f32_e32 v20, v24
	v_mul_f32_e32 v8, v8, v19
	v_fma_f32 v19, -v33, v30, v15
	v_fmac_f32_e32 v30, v19, v32
	s_waitcnt_depctr 0xfff
	v_fma_f32 v26, -v24, v20, 1.0
	v_mul_f32_e32 v13, v21, v31
	v_fma_f32 v15, -v33, v30, v15
	s_delay_alu instid0(VALU_DEP_3) | instskip(NEXT) | instid1(VALU_DEP_3)
	v_fmac_f32_e32 v20, v26, v20
	v_fma_f32 v25, -v18, v13, v21
	v_div_scale_f32 v26, s5, v11, v17, v11
	s_delay_alu instid0(VALU_DEP_2) | instskip(SKIP_2) | instid1(VALU_DEP_3)
	v_fmac_f32_e32 v13, v25, v31
	v_mul_f32_e32 v25, v29, v34
	v_div_scale_f32 v35, null, v16, v16, v8
	v_fma_f32 v18, -v18, v13, v21
	s_delay_alu instid0(VALU_DEP_3) | instskip(NEXT) | instid1(VALU_DEP_3)
	v_fma_f32 v19, -v14, v25, v29
	v_rcp_f32_e32 v21, v35
	s_delay_alu instid0(VALU_DEP_2)
	v_div_fmas_f32 v13, v18, v31, v13
	ds_swizzle_b32 v18, v7 offset:swizzle(BROADCAST,32,15)
	s_mov_b32 vcc_lo, s3
	ds_swizzle_b32 v31, v16 offset:swizzle(BROADCAST,32,15)
	v_div_fmas_f32 v15, v15, v32, v30
	v_div_fixup_f32 v9, v13, v17, v9
	s_mov_b32 vcc_lo, s4
	v_fma_f32 v33, -v35, v21, 1.0
	v_div_scale_f32 v30, s2, v8, v16, v8
	s_delay_alu instid0(VALU_DEP_3)
	v_add_f32_e32 v3, v4, v9
	v_div_fixup_f32 v4, v15, v16, v12
	ds_swizzle_b32 v12, v2 offset:swizzle(BROADCAST,32,15)
	v_fmac_f32_e32 v25, v19, v34
	v_add_f32_e32 v3, v4, v3
	ds_swizzle_b32 v4, v5 offset:swizzle(BROADCAST,32,15)
	v_fma_f32 v14, -v14, v25, v29
	s_waitcnt lgkmcnt(3)
	v_sub_f32_e32 v7, v7, v18
	v_mul_f32_e32 v19, v26, v20
	s_delay_alu instid0(VALU_DEP_3) | instskip(SKIP_1) | instid1(VALU_DEP_3)
	v_div_fmas_f32 v14, v14, v34, v25
	s_mov_b32 vcc_lo, s5
	v_mul_f32_e32 v27, v16, v7
	s_delay_alu instid0(VALU_DEP_3) | instskip(NEXT) | instid1(VALU_DEP_3)
	v_fma_f32 v29, -v24, v19, v26
	v_div_fixup_f32 v14, v14, v28, v22
	s_delay_alu instid0(VALU_DEP_2) | instskip(NEXT) | instid1(VALU_DEP_2)
	v_fmac_f32_e32 v19, v29, v20
	v_add_f32_e32 v1, v1, v14
	s_waitcnt lgkmcnt(2)
	v_sub_f32_e32 v29, v31, v16
	s_delay_alu instid0(VALU_DEP_3) | instskip(SKIP_1) | instid1(VALU_DEP_2)
	v_fma_f32 v22, -v24, v19, v26
	v_dual_add_f32 v26, v16, v31 :: v_dual_fmac_f32 v21, v33, v21
	v_div_fmas_f32 v19, v22, v20, v19
	s_delay_alu instid0(VALU_DEP_2)
	v_mul_f32_e32 v22, v26, v26
	v_div_scale_f32 v20, null, v26, v26, v27
	s_mov_b32 vcc_lo, s2
	s_waitcnt lgkmcnt(0)
	v_cmp_lt_f32_e64 s2, v5, v4
	v_mul_f32_e32 v28, v26, v22
	v_rcp_f32_e32 v14, v20
	s_delay_alu instid0(VALU_DEP_2) | instskip(SKIP_2) | instid1(VALU_DEP_1)
	v_cndmask_b32_e64 v4, v4, v5, s2
	s_waitcnt_depctr 0xfff
	v_fma_f32 v9, -v20, v14, 1.0
	v_dual_mul_f32 v25, v30, v21 :: v_dual_fmac_f32 v14, v9, v14
	s_delay_alu instid0(VALU_DEP_1) | instskip(NEXT) | instid1(VALU_DEP_1)
	v_fma_f32 v24, -v35, v25, v30
	v_fmac_f32_e32 v25, v24, v21
	s_delay_alu instid0(VALU_DEP_1) | instskip(NEXT) | instid1(VALU_DEP_1)
	v_fma_f32 v13, -v35, v25, v30
	v_div_fmas_f32 v13, v13, v21, v25
	v_cmp_gt_f32_e32 vcc_lo, v6, v10
	s_delay_alu instid0(VALU_DEP_2)
	v_div_fixup_f32 v8, v13, v16, v8
	v_cndmask_b32_e32 v6, v10, v6, vcc_lo
	v_div_fixup_f32 v11, v19, v17, v11
	v_mul_f32_e32 v17, v17, v12
	ds_swizzle_b32 v10, v6 offset:swizzle(BROADCAST,32,15)
	v_add_f32_e32 v1, v11, v1
	s_delay_alu instid0(VALU_DEP_1) | instskip(NEXT) | instid1(VALU_DEP_1)
	v_dual_add_f32 v1, v8, v1 :: v_dual_mul_f32 v8, v7, v7
	v_mul_f32_e32 v21, v7, v8
	v_dual_mul_f32 v11, v8, v31 :: v_dual_mul_f32 v8, 0x40c00000, v8
	s_delay_alu instid0(VALU_DEP_2) | instskip(NEXT) | instid1(VALU_DEP_2)
	v_mul_f32_e32 v25, v21, v31
	v_mul_f32_e32 v11, v16, v11
	s_waitcnt lgkmcnt(0)
	v_cmp_gt_f32_e64 s2, v6, v10
	s_delay_alu instid0(VALU_DEP_3) | instskip(NEXT) | instid1(VALU_DEP_2)
	v_mul_f32_e32 v25, v16, v25
	v_cndmask_b32_e64 v5, v10, v6, s2
	v_mul_f32_e32 v10, v16, v12
	s_delay_alu instid0(VALU_DEP_3) | instskip(NEXT) | instid1(VALU_DEP_2)
	v_dual_mul_f32 v6, v29, v25 :: v_dual_mul_f32 v29, 0x40400000, v7
	v_fma_f32 v10, v2, v31, -v10
	s_delay_alu instid0(VALU_DEP_2) | instskip(NEXT) | instid1(VALU_DEP_2)
	v_div_scale_f32 v25, null, v22, v22, v6
	v_mul_f32_e32 v10, v29, v10
	v_div_scale_f32 v9, vcc_lo, v27, v26, v27
	s_delay_alu instid0(VALU_DEP_2) | instskip(NEXT) | instid1(VALU_DEP_2)
	v_div_scale_f32 v30, null, v26, v26, v10
	v_mul_f32_e32 v15, v9, v14
	s_delay_alu instid0(VALU_DEP_2) | instskip(NEXT) | instid1(VALU_DEP_1)
	v_rcp_f32_e32 v33, v30
	v_fma_f32 v23, -v20, v15, v9
	s_delay_alu instid0(VALU_DEP_1) | instskip(SKIP_3) | instid1(VALU_DEP_2)
	v_fmac_f32_e32 v15, v23, v14
	s_waitcnt_depctr 0xfff
	v_fma_f32 v34, -v30, v33, 1.0
	v_fma_f32 v9, -v20, v15, v9
	v_fmac_f32_e32 v33, v34, v33
	v_div_scale_f32 v34, s3, v10, v26, v10
	s_delay_alu instid0(VALU_DEP_3) | instskip(SKIP_2) | instid1(VALU_DEP_2)
	v_div_fmas_f32 v9, v9, v14, v15
	v_mul_f32_e32 v14, v31, v31
	v_rcp_f32_e32 v15, v25
	v_div_fixup_f32 v9, v9, v26, v27
	s_delay_alu instid0(VALU_DEP_2) | instskip(SKIP_4) | instid1(VALU_DEP_3)
	v_fmac_f32_e32 v17, v14, v2
	v_add_f32_e32 v2, v2, v12
	v_div_scale_f32 v24, null, v26, v26, v11
	v_mul_f32_e32 v21, v7, v21
	v_div_scale_f32 v29, vcc_lo, v11, v26, v11
	v_rcp_f32_e32 v23, v24
	s_delay_alu instid0(TRANS32_DEP_2) | instskip(SKIP_2) | instid1(VALU_DEP_3)
	v_fma_f32 v27, -v25, v15, 1.0
	v_dual_mul_f32 v8, v8, v17 :: v_dual_mul_f32 v7, 4.0, v7
	v_add_f32_e32 v9, v9, v18
	v_fmac_f32_e32 v15, v27, v15
	s_delay_alu instid0(VALU_DEP_3) | instskip(SKIP_2) | instid1(VALU_DEP_1)
	v_div_scale_f32 v40, s5, v8, v22, v8
	s_waitcnt_depctr 0xfff
	v_fma_f32 v20, -v24, v23, 1.0
	v_fmac_f32_e32 v23, v20, v23
	v_mul_f32_e32 v20, v21, v31
	v_fma_f32 v21, -v16, v31, v14
	v_div_scale_f32 v14, s2, v6, v22, v6
	s_delay_alu instid0(VALU_DEP_4) | instskip(NEXT) | instid1(VALU_DEP_4)
	v_mul_f32_e32 v32, v29, v23
	v_mul_f32_e32 v20, v16, v20
	s_delay_alu instid0(VALU_DEP_4) | instskip(NEXT) | instid1(VALU_DEP_1)
	v_fmac_f32_e32 v21, v16, v16
	v_dual_mul_f32 v17, v14, v15 :: v_dual_mul_f32 v20, v21, v20
	ds_swizzle_b32 v13, v3 offset:swizzle(BROADCAST,32,15)
	v_fma_f32 v21, -v24, v32, v29
	v_div_scale_f32 v27, null, v28, v28, v20
	s_delay_alu instid0(VALU_DEP_2) | instskip(SKIP_1) | instid1(VALU_DEP_3)
	v_fmac_f32_e32 v32, v21, v23
	v_div_scale_f32 v21, null, v22, v22, v8
	v_rcp_f32_e32 v35, v27
	ds_swizzle_b32 v19, v1 offset:swizzle(BROADCAST,32,15)
	v_fma_f32 v24, -v24, v32, v29
	v_rcp_f32_e32 v37, v21
	v_fma_f32 v29, -v25, v17, v14
	s_delay_alu instid0(VALU_DEP_2) | instskip(SKIP_1) | instid1(VALU_DEP_2)
	v_div_fmas_f32 v23, v24, v23, v32
	s_mov_b32 vcc_lo, s2
	v_fmac_f32_e32 v17, v29, v15
	v_fma_f32 v36, -v27, v35, 1.0
	s_waitcnt lgkmcnt(1)
	v_mul_f32_e32 v16, v16, v13
	v_div_fixup_f32 v11, v23, v26, v11
	v_fma_f32 v14, -v25, v17, v14
	v_fmac_f32_e32 v35, v36, v35
	s_delay_alu instid0(VALU_DEP_4)
	v_fma_f32 v16, v3, v31, -v16
	v_fma_f32 v36, -v21, v37, 1.0
	v_mul_f32_e32 v31, v34, v33
	v_div_fmas_f32 v14, v14, v15, v17
	s_mov_b32 vcc_lo, s3
	v_mul_f32_e32 v7, v7, v16
	v_div_scale_f32 v16, s4, v20, v28, v20
	v_fmac_f32_e32 v37, v36, v37
	v_fma_f32 v29, -v30, v31, v34
	s_delay_alu instid0(VALU_DEP_4) | instskip(NEXT) | instid1(VALU_DEP_4)
	v_div_scale_f32 v38, null, v26, v26, v7
	v_mul_f32_e32 v39, v16, v35
	s_delay_alu instid0(VALU_DEP_4) | instskip(NEXT) | instid1(VALU_DEP_4)
	v_mul_f32_e32 v25, v40, v37
	v_fmac_f32_e32 v31, v29, v33
	s_delay_alu instid0(VALU_DEP_4)
	v_rcp_f32_e32 v36, v38
	s_waitcnt lgkmcnt(0)
	v_add_f32_e32 v1, v1, v19
	v_fma_f32 v24, -v27, v39, v16
	v_fma_f32 v17, -v21, v25, v40
	v_fma_f32 v15, -v30, v31, v34
	v_add_f32_e32 v3, v3, v13
	v_div_fixup_f32 v6, v14, v22, v6
	v_fmac_f32_e32 v39, v24, v35
	v_div_scale_f32 v24, s2, v7, v26, v7
	v_fma_f32 v29, -v38, v36, 1.0
	v_fmac_f32_e32 v25, v17, v37
	s_delay_alu instid0(VALU_DEP_4)
	v_fma_f32 v16, -v27, v39, v16
	v_div_fmas_f32 v15, v15, v33, v31
	s_mov_b32 vcc_lo, s4
	v_fmac_f32_e32 v36, v29, v36
	v_fma_f32 v12, -v21, v25, v40
	v_div_fmas_f32 v16, v16, v35, v39
	s_mov_b32 vcc_lo, s5
	v_add_f32_e32 v3, v3, v6
	v_mul_f32_e32 v27, v24, v36
	v_div_fmas_f32 v12, v12, v37, v25
	v_div_fixup_f32 v16, v16, v28, v20
	s_mov_b32 vcc_lo, s2
	v_div_fixup_f32 v6, v15, v26, v10
	v_add_f32_e32 v10, v2, v11
	v_fma_f32 v17, -v38, v27, v24
	v_add_f32_e32 v1, v1, v16
	v_div_fixup_f32 v8, v12, v22, v8
	v_add_f32_e32 v6, v6, v3
	s_mov_b32 s2, exec_lo
	v_fmac_f32_e32 v27, v17, v36
	s_delay_alu instid0(VALU_DEP_3) | instskip(NEXT) | instid1(VALU_DEP_2)
	v_dual_add_f32 v1, v8, v1 :: v_dual_mov_b32 v8, 0
	v_fma_f32 v13, -v38, v27, v24
	ds_bpermute_b32 v2, v8, v4 offset:124
	ds_bpermute_b32 v3, v8, v5 offset:124
	v_div_fmas_f32 v12, v13, v36, v27
	ds_bpermute_b32 v4, v8, v9 offset:124
	ds_bpermute_b32 v17, v8, v10 offset:124
	;; [unrolled: 1-line block ×3, first 2 shown]
	v_mbcnt_lo_u32_b32 v5, -1, 0
	v_div_fixup_f32 v7, v12, v26, v7
	s_delay_alu instid0(VALU_DEP_1)
	v_add_f32_e32 v7, v7, v1
	ds_bpermute_b32 v1, v8, v26 offset:124
	ds_bpermute_b32 v19, v8, v7 offset:124
	v_cmpx_eq_u32_e32 0, v5
	s_cbranch_execz .LBB16_6
; %bb.5:
	v_lshrrev_b32_e32 v6, 5, v0
	s_delay_alu instid0(VALU_DEP_1)
	v_mul_u32_u24_e32 v6, 28, v6
	s_waitcnt lgkmcnt(1)
	ds_store_2addr_b32 v6, v1, v2 offset0:168 offset1:169
	ds_store_2addr_b32 v6, v3, v4 offset0:170 offset1:171
	;; [unrolled: 1-line block ×3, first 2 shown]
	s_waitcnt lgkmcnt(3)
	ds_store_b32 v6, v19 offset:696
.LBB16_6:
	s_or_b32 exec_lo, exec_lo, s2
	s_delay_alu instid0(SALU_CYCLE_1)
	s_mov_b32 s6, exec_lo
	s_waitcnt lgkmcnt(0)
	s_barrier
	buffer_gl0_inv
	v_cmpx_gt_u32_e32 32, v0
	s_cbranch_execz .LBB16_8
; %bb.7:
	v_and_b32_e32 v1, 7, v5
	s_delay_alu instid0(VALU_DEP_1)
	v_mul_u32_u24_e32 v4, 28, v1
	ds_load_2addr_b32 v[2:3], v4 offset0:168 offset1:169
	ds_load_2addr_b32 v[6:7], v4 offset0:170 offset1:171
	ds_load_2addr_b32 v[8:9], v4 offset0:172 offset1:173
	ds_load_b32 v4, v4 offset:696
	s_waitcnt lgkmcnt(3)
	v_mul_f32_e32 v18, v2, v2
	v_cmp_ne_u32_e32 vcc_lo, 7, v1
	v_add_co_ci_u32_e32 v10, vcc_lo, 0, v5, vcc_lo
	v_cmp_gt_u32_e32 vcc_lo, 6, v1
	s_delay_alu instid0(VALU_DEP_2) | instskip(SKIP_3) | instid1(VALU_DEP_1)
	v_lshlrev_b32_e32 v10, 2, v10
	v_cndmask_b32_e64 v17, 0, 1, vcc_lo
	ds_bpermute_b32 v11, v10, v2
	v_lshlrev_b32_e32 v17, 1, v17
	v_add_lshl_u32 v17, v17, v5, 2
	s_waitcnt lgkmcnt(0)
	v_add_f32_e32 v19, v2, v11
	ds_bpermute_b32 v13, v10, v3
	ds_bpermute_b32 v12, v10, v7
	;; [unrolled: 1-line block ×5, first 2 shown]
	v_mul_f32_e32 v21, v8, v11
	v_fma_f32 v22, -v2, v11, v18
	ds_bpermute_b32 v10, v10, v4
	s_waitcnt lgkmcnt(5)
	v_cmp_gt_f32_e32 vcc_lo, v3, v13
	s_waitcnt lgkmcnt(4)
	v_dual_sub_f32 v12, v12, v7 :: v_dual_cndmask_b32 v3, v3, v13
	s_waitcnt lgkmcnt(3)
	v_cmp_lt_f32_e32 vcc_lo, v6, v14
	s_delay_alu instid0(VALU_DEP_2)
	v_dual_sub_f32 v20, v2, v11 :: v_dual_mul_f32 v25, v12, v12
	s_waitcnt lgkmcnt(1)
	v_add_f32_e32 v13, v8, v15
	v_dual_mul_f32 v23, v11, v11 :: v_dual_cndmask_b32 v6, v6, v14
	v_add_f32_e32 v14, v9, v16
	v_dual_mul_f32 v18, v18, v15 :: v_dual_mul_f32 v27, 0x40400000, v12
	v_mul_f32_e32 v24, v19, v19
	v_dual_mul_f32 v26, v12, v11 :: v_dual_mul_f32 v29, v2, v25
	v_fma_f32 v15, v2, v15, -v21
	v_mul_f32_e32 v21, v12, v25
	v_mul_f32_e32 v9, v9, v11
	v_fmac_f32_e32 v18, v8, v23
	v_mul_f32_e32 v8, 4.0, v12
	v_div_scale_f32 v23, null, v19, v19, v26
	s_delay_alu instid0(VALU_DEP_4) | instskip(SKIP_3) | instid1(VALU_DEP_4)
	v_fma_f32 v9, v2, v16, -v9
	v_dual_fmac_f32 v22, v11, v11 :: v_dual_mul_f32 v25, 0x40c00000, v25
	v_mul_f32_e32 v15, v27, v15
	v_mul_f32_e32 v16, v19, v24
	;; [unrolled: 1-line block ×4, first 2 shown]
	v_rcp_f32_e32 v12, v23
	v_dual_mul_f32 v21, v2, v21 :: v_dual_mul_f32 v18, v25, v18
	s_delay_alu instid0(VALU_DEP_2) | instskip(SKIP_2) | instid1(VALU_DEP_3)
	v_dual_mul_f32 v27, v29, v11 :: v_dual_mul_f32 v2, v2, v9
	v_div_scale_f32 v29, null, v19, v19, v15
	v_div_scale_f32 v28, vcc_lo, v26, v19, v26
	v_mul_f32_e32 v2, v2, v11
	s_delay_alu instid0(VALU_DEP_3) | instskip(NEXT) | instid1(TRANS32_DEP_2)
	v_rcp_f32_e32 v32, v29
	v_fma_f32 v33, -v23, v12, 1.0
	v_mul_f32_e32 v21, v21, v11
	v_div_scale_f32 v31, null, v19, v19, v27
	v_mul_f32_e32 v2, v22, v2
	s_delay_alu instid0(VALU_DEP_4) | instskip(SKIP_1) | instid1(VALU_DEP_4)
	v_fmac_f32_e32 v12, v33, v12
	v_div_scale_f32 v9, null, v24, v24, v18
	v_rcp_f32_e32 v34, v31
	s_delay_alu instid0(TRANS32_DEP_2) | instskip(NEXT) | instid1(VALU_DEP_3)
	v_fma_f32 v33, -v29, v32, 1.0
	v_mul_f32_e32 v36, v28, v12
	v_div_scale_f32 v38, null, v16, v16, v2
	v_rcp_f32_e32 v11, v9
	s_delay_alu instid0(VALU_DEP_3) | instskip(NEXT) | instid1(VALU_DEP_3)
	v_fmac_f32_e32 v32, v33, v32
	v_fma_f32 v39, -v23, v36, v28
	s_delay_alu instid0(VALU_DEP_3) | instskip(SKIP_1) | instid1(TRANS32_DEP_3)
	v_rcp_f32_e32 v33, v38
	v_div_scale_f32 v30, s2, v15, v19, v15
	v_fma_f32 v22, -v31, v34, 1.0
	s_delay_alu instid0(VALU_DEP_3) | instskip(SKIP_3) | instid1(VALU_DEP_4)
	v_fmac_f32_e32 v36, v39, v12
	v_div_scale_f32 v35, s3, v27, v19, v27
	v_mul_f32_e32 v20, v20, v21
	v_div_scale_f32 v25, null, v19, v19, v8
	v_fma_f32 v23, -v23, v36, v28
	s_delay_alu instid0(TRANS32_DEP_1) | instskip(SKIP_1) | instid1(VALU_DEP_2)
	v_fma_f32 v28, -v38, v33, 1.0
	v_div_scale_f32 v39, s5, v2, v16, v2
	v_fmac_f32_e32 v33, v28, v33
	s_delay_alu instid0(VALU_DEP_4) | instskip(SKIP_3) | instid1(VALU_DEP_3)
	v_div_fmas_f32 v12, v23, v12, v36
	v_mul_f32_e32 v23, v30, v32
	v_div_scale_f32 v21, null, v24, v24, v20
	s_mov_b32 vcc_lo, s3
	v_div_fixup_f32 v12, v12, v19, v26
	v_fmac_f32_e32 v34, v22, v34
	s_delay_alu instid0(VALU_DEP_3) | instskip(SKIP_1) | instid1(VALU_DEP_3)
	v_rcp_f32_e32 v37, v21
	v_div_scale_f32 v22, s4, v20, v24, v20
	v_add_f32_e32 v7, v7, v12
	s_delay_alu instid0(VALU_DEP_3) | instskip(SKIP_2) | instid1(VALU_DEP_2)
	v_mul_f32_e32 v40, v35, v34
	s_waitcnt lgkmcnt(0)
	v_add_f32_e32 v4, v4, v10
	v_fma_f32 v42, -v31, v40, v35
	s_waitcnt_depctr 0xfff
	v_fma_f32 v41, -v21, v37, 1.0
	s_delay_alu instid0(VALU_DEP_1) | instskip(SKIP_1) | instid1(VALU_DEP_2)
	v_dual_fmac_f32 v40, v42, v34 :: v_dual_fmac_f32 v37, v41, v37
	v_fma_f32 v41, -v9, v11, 1.0
	v_fma_f32 v28, -v31, v40, v35
	s_delay_alu instid0(VALU_DEP_2) | instskip(NEXT) | instid1(VALU_DEP_2)
	v_fmac_f32_e32 v11, v41, v11
	v_div_fmas_f32 v26, v28, v34, v40
	v_fma_f32 v28, -v29, v23, v30
	s_mov_b32 vcc_lo, s4
	s_delay_alu instid0(VALU_DEP_2) | instskip(NEXT) | instid1(VALU_DEP_2)
	v_div_fixup_f32 v12, v26, v19, v27
	v_fmac_f32_e32 v23, v28, v32
	v_rcp_f32_e32 v26, v25
	v_div_scale_f32 v27, s3, v18, v24, v18
	ds_bpermute_b32 v28, v17, v7
	v_fma_f32 v29, -v29, v23, v30
	ds_bpermute_b32 v30, v17, v19
	v_mul_f32_e32 v42, v22, v37
	v_fma_f32 v34, -v25, v26, 1.0
	s_delay_alu instid0(VALU_DEP_2) | instskip(NEXT) | instid1(VALU_DEP_2)
	v_fma_f32 v31, -v21, v42, v22
	v_fmac_f32_e32 v26, v34, v26
	s_delay_alu instid0(VALU_DEP_2) | instskip(SKIP_1) | instid1(VALU_DEP_2)
	v_fmac_f32_e32 v42, v31, v37
	v_mul_f32_e32 v31, v39, v33
	v_fma_f32 v21, -v21, v42, v22
	s_delay_alu instid0(VALU_DEP_2) | instskip(SKIP_2) | instid1(VALU_DEP_3)
	v_fma_f32 v22, -v38, v31, v39
	s_waitcnt lgkmcnt(1)
	v_sub_f32_e32 v10, v28, v7
	v_div_fmas_f32 v21, v21, v37, v42
	s_delay_alu instid0(VALU_DEP_3) | instskip(SKIP_3) | instid1(VALU_DEP_3)
	v_dual_fmac_f32 v31, v22, v33 :: v_dual_mul_f32 v22, v27, v11
	s_mov_b32 vcc_lo, s2
	v_div_scale_f32 v34, s2, v8, v19, v8
	v_div_fmas_f32 v23, v29, v32, v23
	v_fma_f32 v29, -v38, v31, v39
	s_mov_b32 vcc_lo, s5
	v_fma_f32 v32, -v9, v22, v27
	s_delay_alu instid0(VALU_DEP_3) | instskip(NEXT) | instid1(VALU_DEP_3)
	v_div_fixup_f32 v15, v23, v19, v15
	v_div_fmas_f32 v29, v29, v33, v31
	v_mul_f32_e32 v31, v34, v26
	s_mov_b32 vcc_lo, s3
	s_delay_alu instid0(VALU_DEP_2) | instskip(NEXT) | instid1(VALU_DEP_2)
	v_div_fixup_f32 v2, v29, v16, v2
	v_fma_f32 v16, -v25, v31, v34
	s_waitcnt lgkmcnt(0)
	v_sub_f32_e32 v29, v19, v30
	s_delay_alu instid0(VALU_DEP_3) | instskip(NEXT) | instid1(VALU_DEP_3)
	v_add_f32_e32 v2, v4, v2
	v_fmac_f32_e32 v31, v16, v26
	v_div_fixup_f32 v16, v21, v24, v20
	ds_bpermute_b32 v20, v17, v6
	v_add_f32_e32 v14, v14, v16
	v_fmac_f32_e32 v22, v32, v11
	v_fma_f32 v4, -v25, v31, v34
	v_mul_f32_e32 v16, v10, v10
	s_delay_alu instid0(VALU_DEP_3) | instskip(SKIP_1) | instid1(VALU_DEP_2)
	v_fma_f32 v9, -v9, v22, v27
	v_add_f32_e32 v27, v19, v30
	v_div_fmas_f32 v9, v9, v11, v22
	s_mov_b32 vcc_lo, s2
	v_div_fmas_f32 v4, v4, v26, v31
	s_delay_alu instid0(VALU_DEP_2) | instskip(NEXT) | instid1(VALU_DEP_2)
	v_div_fixup_f32 v9, v9, v24, v18
	v_div_fixup_f32 v4, v4, v19, v8
	v_add_f32_e32 v8, v13, v12
	s_delay_alu instid0(VALU_DEP_3)
	v_add_f32_e32 v2, v9, v2
	v_dual_add_f32 v9, v15, v14 :: v_dual_mul_f32 v14, v10, v16
	ds_bpermute_b32 v22, v17, v8
	v_add_f32_e32 v2, v4, v2
	ds_bpermute_b32 v4, v17, v3
	v_mul_f32_e32 v21, v19, v14
	v_mul_f32_e32 v28, v10, v30
	;; [unrolled: 1-line block ×4, first 2 shown]
	ds_bpermute_b32 v32, v17, v9
	v_mul_f32_e32 v21, v21, v30
	v_div_scale_f32 v11, null, v27, v27, v28
	s_delay_alu instid0(VALU_DEP_2) | instskip(NEXT) | instid1(VALU_DEP_2)
	v_mul_f32_e32 v21, v29, v21
	v_rcp_f32_e32 v18, v11
	s_waitcnt_depctr 0xfff
	v_fma_f32 v13, -v11, v18, 1.0
	s_delay_alu instid0(VALU_DEP_1) | instskip(SKIP_1) | instid1(VALU_DEP_1)
	v_fmac_f32_e32 v18, v13, v18
	v_div_scale_f32 v13, vcc_lo, v28, v27, v28
	v_dual_mul_f32 v12, v19, v16 :: v_dual_mul_f32 v23, v13, v18
	s_delay_alu instid0(VALU_DEP_1) | instskip(NEXT) | instid1(VALU_DEP_2)
	v_mul_f32_e32 v12, v12, v30
	v_fma_f32 v31, -v11, v23, v13
	s_delay_alu instid0(VALU_DEP_2) | instskip(NEXT) | instid1(VALU_DEP_2)
	v_div_scale_f32 v15, null, v27, v27, v12
	v_fmac_f32_e32 v23, v31, v18
	s_delay_alu instid0(VALU_DEP_2) | instskip(NEXT) | instid1(VALU_DEP_1)
	v_rcp_f32_e32 v25, v15
	v_fma_f32 v11, -v11, v23, v13
	v_div_scale_f32 v13, s2, v12, v27, v12
	s_delay_alu instid0(VALU_DEP_2)
	v_div_fmas_f32 v11, v11, v18, v23
	s_waitcnt lgkmcnt(1)
	v_cmp_gt_f32_e32 vcc_lo, v3, v4
	s_waitcnt_depctr 0xfff
	v_fma_f32 v29, -v15, v25, 1.0
	v_cndmask_b32_e32 v3, v3, v4, vcc_lo
	v_div_fixup_f32 v11, v11, v27, v28
	s_delay_alu instid0(VALU_DEP_3) | instskip(SKIP_1) | instid1(VALU_DEP_2)
	v_fmac_f32_e32 v25, v29, v25
	s_mov_b32 vcc_lo, s2
	v_dual_mul_f32 v4, v8, v30 :: v_dual_add_f32 v7, v7, v11
	v_add_f32_e32 v11, v8, v22
	v_div_scale_f32 v31, null, v26, v26, v21
	v_dual_mul_f32 v33, v27, v26 :: v_dual_mul_f32 v18, v13, v25
	s_delay_alu instid0(VALU_DEP_4) | instskip(NEXT) | instid1(VALU_DEP_3)
	v_fma_f32 v4, v19, v22, -v4
	v_rcp_f32_e32 v29, v31
	v_mul_f32_e32 v22, v24, v22
	s_delay_alu instid0(VALU_DEP_3) | instskip(NEXT) | instid1(VALU_DEP_1)
	v_fma_f32 v23, -v15, v18, v13
	v_fmac_f32_e32 v18, v23, v25
	v_div_scale_f32 v23, s3, v21, v26, v21
	s_waitcnt_depctr 0xfff
	v_fma_f32 v28, -v31, v29, 1.0
	v_fma_f32 v13, -v15, v18, v13
	s_delay_alu instid0(VALU_DEP_2) | instskip(SKIP_1) | instid1(VALU_DEP_3)
	v_fmac_f32_e32 v29, v28, v29
	v_fma_f32 v28, -v19, v30, v24
	v_div_fmas_f32 v13, v13, v25, v18
	v_cmp_gt_u32_e32 vcc_lo, 4, v1
	s_delay_alu instid0(VALU_DEP_4) | instskip(SKIP_3) | instid1(VALU_DEP_3)
	v_dual_mul_f32 v18, v30, v30 :: v_dual_mul_f32 v15, v23, v29
	v_mul_f32_e32 v16, 0x40c00000, v16
	v_cndmask_b32_e64 v1, 0, 1, vcc_lo
	s_mov_b32 vcc_lo, s3
	v_fma_f32 v24, -v31, v15, v23
	s_delay_alu instid0(VALU_DEP_2) | instskip(SKIP_1) | instid1(VALU_DEP_3)
	v_lshlrev_b32_e32 v1, 2, v1
	v_div_fixup_f32 v12, v13, v27, v12
	v_fmac_f32_e32 v15, v24, v29
	s_delay_alu instid0(VALU_DEP_3) | instskip(NEXT) | instid1(VALU_DEP_2)
	v_add_lshl_u32 v5, v1, v5, 2
	v_fma_f32 v23, -v31, v15, v23
	s_delay_alu instid0(VALU_DEP_1)
	v_div_fmas_f32 v15, v23, v29, v15
	ds_bpermute_b32 v29, v5, v27
	v_fmac_f32_e32 v22, v18, v8
	s_waitcnt lgkmcnt(1)
	v_add_f32_e32 v18, v9, v32
	v_mul_f32_e32 v9, v9, v30
	ds_bpermute_b32 v23, v5, v7
	v_div_fixup_f32 v15, v15, v26, v21
	v_mul_f32_e32 v16, v16, v22
	v_fma_f32 v9, v19, v32, -v9
	s_delay_alu instid0(VALU_DEP_3) | instskip(NEXT) | instid1(VALU_DEP_3)
	v_add_f32_e32 v13, v18, v15
	v_div_scale_f32 v22, null, v26, v26, v16
	v_div_scale_f32 v1, s5, v16, v26, v16
	s_delay_alu instid0(VALU_DEP_2) | instskip(SKIP_3) | instid1(VALU_DEP_2)
	v_rcp_f32_e32 v31, v22
	s_waitcnt_depctr 0xfff
	v_fma_f32 v32, -v22, v31, 1.0
	v_mul_f32_e32 v14, v10, v14
	v_dual_mul_f32 v10, 4.0, v10 :: v_dual_fmac_f32 v31, v32, v31
	s_delay_alu instid0(VALU_DEP_1) | instskip(SKIP_2) | instid1(VALU_DEP_1)
	v_mul_f32_e32 v9, v10, v9
	ds_bpermute_b32 v17, v17, v2
	v_div_scale_f32 v36, null, v27, v27, v9
	v_rcp_f32_e32 v32, v36
	s_waitcnt lgkmcnt(0)
	v_dual_add_f32 v2, v2, v17 :: v_dual_sub_f32 v17, v23, v7
	v_mul_f32_e32 v14, v19, v14
	v_mul_f32_e32 v4, v34, v4
	s_delay_alu instid0(VALU_DEP_3) | instskip(NEXT) | instid1(VALU_DEP_3)
	v_dual_fmac_f32 v28, v30, v30 :: v_dual_mul_f32 v23, v17, v29
	v_mul_f32_e32 v14, v14, v30
	s_delay_alu instid0(VALU_DEP_3) | instskip(NEXT) | instid1(VALU_DEP_2)
	v_div_scale_f32 v34, null, v27, v27, v4
	v_mul_f32_e32 v14, v28, v14
	s_delay_alu instid0(VALU_DEP_2) | instskip(NEXT) | instid1(VALU_DEP_1)
	v_rcp_f32_e32 v35, v34
	v_div_scale_f32 v25, null, v33, v33, v14
	v_div_scale_f32 v19, s4, v14, v33, v14
	s_delay_alu instid0(VALU_DEP_2) | instskip(SKIP_2) | instid1(VALU_DEP_1)
	v_rcp_f32_e32 v28, v25
	s_waitcnt_depctr 0xfff
	v_fma_f32 v8, -v34, v35, 1.0
	v_fmac_f32_e32 v35, v8, v35
	v_div_scale_f32 v8, s2, v4, v27, v4
	s_delay_alu instid0(VALU_DEP_1) | instskip(SKIP_1) | instid1(VALU_DEP_2)
	s_mov_b32 vcc_lo, s2
	v_fma_f32 v24, -v25, v28, 1.0
	v_mul_f32_e32 v30, v8, v35
	s_delay_alu instid0(VALU_DEP_2) | instskip(NEXT) | instid1(VALU_DEP_2)
	v_fmac_f32_e32 v28, v24, v28
	v_fma_f32 v24, -v34, v30, v8
	s_delay_alu instid0(VALU_DEP_2) | instskip(NEXT) | instid1(VALU_DEP_2)
	v_mul_f32_e32 v10, v19, v28
	v_fmac_f32_e32 v30, v24, v35
	s_delay_alu instid0(VALU_DEP_2) | instskip(NEXT) | instid1(VALU_DEP_2)
	v_fma_f32 v24, -v25, v10, v19
	v_fma_f32 v8, -v34, v30, v8
	v_fma_f32 v34, -v36, v32, 1.0
	s_delay_alu instid0(VALU_DEP_3) | instskip(SKIP_1) | instid1(VALU_DEP_4)
	v_fmac_f32_e32 v10, v24, v28
	v_mul_f32_e32 v24, v1, v31
	v_div_fmas_f32 v8, v8, v35, v30
	s_delay_alu instid0(VALU_DEP_4)
	v_fmac_f32_e32 v32, v34, v32
	v_div_scale_f32 v30, s2, v9, v27, v9
	v_fma_f32 v19, -v25, v10, v19
	v_fma_f32 v25, -v22, v24, v1
	s_mov_b32 vcc_lo, s4
	v_div_fixup_f32 v4, v8, v27, v4
	s_delay_alu instid0(VALU_DEP_3) | instskip(NEXT) | instid1(VALU_DEP_3)
	v_div_fmas_f32 v10, v19, v28, v10
	v_dual_fmac_f32 v24, v25, v31 :: v_dual_mul_f32 v19, v30, v32
	s_mov_b32 vcc_lo, s5
	s_delay_alu instid0(VALU_DEP_2) | instskip(NEXT) | instid1(VALU_DEP_2)
	v_div_fixup_f32 v10, v10, v33, v14
	v_fma_f32 v14, -v22, v24, v1
	s_delay_alu instid0(VALU_DEP_3) | instskip(NEXT) | instid1(VALU_DEP_3)
	v_fma_f32 v22, -v36, v19, v30
	v_dual_add_f32 v1, v27, v29 :: v_dual_add_f32 v2, v2, v10
	s_delay_alu instid0(VALU_DEP_3) | instskip(NEXT) | instid1(VALU_DEP_3)
	v_div_fmas_f32 v14, v14, v31, v24
	v_fmac_f32_e32 v19, v22, v32
	s_mov_b32 vcc_lo, s2
	s_delay_alu instid0(VALU_DEP_3) | instskip(NEXT) | instid1(VALU_DEP_2)
	v_div_scale_f32 v22, null, v1, v1, v23
	v_fma_f32 v10, -v36, v19, v30
	v_sub_f32_e32 v30, v27, v29
	s_delay_alu instid0(VALU_DEP_2) | instskip(SKIP_1) | instid1(VALU_DEP_2)
	v_div_fmas_f32 v10, v10, v32, v19
	v_cmp_lt_f32_e32 vcc_lo, v6, v20
	v_div_fixup_f32 v8, v10, v27, v9
	v_dual_add_f32 v10, v11, v12 :: v_dual_mul_f32 v11, v17, v17
	v_cndmask_b32_e32 v6, v6, v20, vcc_lo
	v_mul_f32_e32 v20, v1, v1
	s_delay_alu instid0(VALU_DEP_3) | instskip(SKIP_2) | instid1(VALU_DEP_3)
	v_mul_f32_e32 v19, v17, v11
	v_mul_f32_e32 v12, v27, v11
	;; [unrolled: 1-line block ×5, first 2 shown]
	v_div_fixup_f32 v14, v14, v26, v16
	v_rcp_f32_e32 v16, v22
	s_delay_alu instid0(VALU_DEP_3) | instskip(NEXT) | instid1(VALU_DEP_2)
	v_mul_f32_e32 v25, v25, v29
	v_dual_mul_f32 v19, v27, v19 :: v_dual_add_f32 v2, v14, v2
	ds_bpermute_b32 v14, v5, v10
	v_dual_mul_f32 v19, v19, v29 :: v_dual_add_f32 v8, v8, v2
	v_fma_f32 v9, -v22, v16, 1.0
	v_div_scale_f32 v2, vcc_lo, v23, v1, v23
	s_delay_alu instid0(VALU_DEP_2) | instskip(SKIP_2) | instid1(VALU_DEP_1)
	v_fmac_f32_e32 v16, v9, v16
	ds_bpermute_b32 v9, v5, v3
	v_mul_f32_e32 v15, v2, v16
	v_fma_f32 v21, -v22, v15, v2
	s_delay_alu instid0(VALU_DEP_1) | instskip(NEXT) | instid1(VALU_DEP_1)
	v_fmac_f32_e32 v15, v21, v16
	v_fma_f32 v22, -v22, v15, v2
	s_waitcnt lgkmcnt(0)
	v_cmp_gt_f32_e64 s2, v3, v9
	s_delay_alu instid0(VALU_DEP_1) | instskip(NEXT) | instid1(VALU_DEP_3)
	v_cndmask_b32_e64 v2, v3, v9, s2
	v_div_fmas_f32 v9, v22, v16, v15
	v_mul_f32_e32 v15, v10, v29
	v_mul_f32_e32 v3, v30, v25
	;; [unrolled: 1-line block ×3, first 2 shown]
	v_mul_f32_e32 v17, 4.0, v17
	v_div_fixup_f32 v9, v9, v1, v23
	v_fma_f32 v15, v27, v14, -v15
	v_div_scale_f32 v22, null, v20, v20, v3
	s_delay_alu instid0(VALU_DEP_2) | instskip(SKIP_2) | instid1(VALU_DEP_4)
	v_mul_f32_e32 v15, v25, v15
	v_fma_f32 v25, -v27, v29, v26
	v_mul_f32_e32 v26, v26, v14
	v_rcp_f32_e32 v30, v22
	s_delay_alu instid0(VALU_DEP_3) | instskip(NEXT) | instid1(VALU_DEP_3)
	v_div_scale_f32 v32, null, v1, v1, v15
	v_fmac_f32_e32 v25, v29, v29
	s_delay_alu instid0(VALU_DEP_2) | instskip(NEXT) | instid1(VALU_DEP_1)
	v_rcp_f32_e32 v34, v32
	v_mul_f32_e32 v19, v25, v19
	v_mul_f32_e32 v25, v29, v29
	s_waitcnt_depctr 0xfff
	v_fma_f32 v33, -v22, v30, 1.0
	v_fmac_f32_e32 v26, v25, v10
	v_add_f32_e32 v4, v4, v13
	v_fma_f32 v35, -v32, v34, 1.0
	ds_bpermute_b32 v13, v5, v6
	v_div_scale_f32 v25, s2, v3, v20, v3
	v_mul_f32_e32 v11, v11, v26
	ds_bpermute_b32 v18, v5, v4
	v_fmac_f32_e32 v34, v35, v34
	v_div_scale_f32 v35, s3, v15, v1, v15
	v_mul_f32_e32 v12, v12, v29
	v_mul_f32_e32 v29, v4, v29
	s_waitcnt lgkmcnt(0)
	s_delay_alu instid0(VALU_DEP_1) | instskip(SKIP_2) | instid1(VALU_DEP_3)
	v_fma_f32 v27, v27, v18, -v29
	v_mul_f32_e32 v29, v35, v34
	v_div_scale_f32 v24, null, v1, v1, v12
	v_dual_add_f32 v4, v4, v18 :: v_dual_mul_f32 v17, v17, v27
	s_delay_alu instid0(VALU_DEP_2) | instskip(NEXT) | instid1(VALU_DEP_1)
	v_rcp_f32_e32 v21, v24
	v_div_scale_f32 v39, null, v1, v1, v17
	s_waitcnt_depctr 0xfff
	v_fma_f32 v16, -v24, v21, 1.0
	s_delay_alu instid0(VALU_DEP_1) | instskip(SKIP_1) | instid1(VALU_DEP_1)
	v_fmac_f32_e32 v21, v16, v21
	v_div_scale_f32 v16, vcc_lo, v12, v1, v12
	v_mul_f32_e32 v31, v16, v21
	s_delay_alu instid0(VALU_DEP_1) | instskip(NEXT) | instid1(VALU_DEP_1)
	v_fma_f32 v23, -v24, v31, v16
	v_fmac_f32_e32 v31, v23, v21
	ds_bpermute_b32 v5, v5, v8
	v_fmac_f32_e32 v30, v33, v30
	v_fma_f32 v16, -v24, v31, v16
	s_delay_alu instid0(VALU_DEP_1) | instskip(SKIP_1) | instid1(VALU_DEP_1)
	v_div_fmas_f32 v16, v16, v21, v31
	s_mov_b32 vcc_lo, s2
	v_div_fixup_f32 v12, v16, v1, v12
	s_waitcnt lgkmcnt(0)
	v_add_f32_e32 v5, v8, v5
	v_mul_f32_e32 v23, v25, v30
	v_add_f32_e32 v10, v10, v14
	s_delay_alu instid0(VALU_DEP_2) | instskip(NEXT) | instid1(VALU_DEP_1)
	v_fma_f32 v24, -v22, v23, v25
	v_fmac_f32_e32 v23, v24, v30
	v_fma_f32 v24, -v32, v29, v35
	v_mul_f32_e32 v28, v1, v20
	v_div_scale_f32 v26, null, v20, v20, v11
	v_div_scale_f32 v41, s5, v11, v20, v11
	s_delay_alu instid0(VALU_DEP_4) | instskip(NEXT) | instid1(VALU_DEP_4)
	v_fmac_f32_e32 v29, v24, v34
	v_div_scale_f32 v33, null, v28, v28, v19
	s_delay_alu instid0(VALU_DEP_4) | instskip(SKIP_1) | instid1(VALU_DEP_2)
	v_rcp_f32_e32 v38, v26
	v_div_scale_f32 v27, s4, v19, v28, v19
	v_rcp_f32_e32 v36, v33
	v_fma_f32 v21, -v22, v23, v25
	s_delay_alu instid0(VALU_DEP_1)
	v_div_fmas_f32 v21, v21, v30, v23
	v_fma_f32 v23, -v32, v29, v35
	s_mov_b32 vcc_lo, s3
	s_waitcnt_depctr 0xfff
	v_fma_f32 v37, -v33, v36, 1.0
	v_div_fixup_f32 v3, v21, v20, v3
	v_div_fmas_f32 v23, v23, v34, v29
	s_mov_b32 vcc_lo, s4
	s_delay_alu instid0(VALU_DEP_3) | instskip(SKIP_1) | instid1(VALU_DEP_3)
	v_fmac_f32_e32 v36, v37, v36
	v_fma_f32 v37, -v26, v38, 1.0
	v_div_fixup_f32 v15, v23, v1, v15
	s_delay_alu instid0(VALU_DEP_3) | instskip(NEXT) | instid1(VALU_DEP_3)
	v_mul_f32_e32 v40, v27, v36
	v_fmac_f32_e32 v38, v37, v38
	v_rcp_f32_e32 v37, v39
	s_delay_alu instid0(VALU_DEP_2) | instskip(NEXT) | instid1(VALU_DEP_2)
	v_fma_f32 v22, -v33, v40, v27
	v_mul_f32_e32 v24, v41, v38
	s_delay_alu instid0(VALU_DEP_2) | instskip(NEXT) | instid1(VALU_DEP_2)
	v_fmac_f32_e32 v40, v22, v36
	v_fma_f32 v22, -v26, v24, v41
	s_waitcnt_depctr 0xfff
	v_fma_f32 v25, -v39, v37, 1.0
	v_fma_f32 v27, -v33, v40, v27
	s_delay_alu instid0(VALU_DEP_2) | instskip(SKIP_1) | instid1(VALU_DEP_3)
	v_dual_fmac_f32 v24, v22, v38 :: v_dual_fmac_f32 v37, v25, v37
	v_div_scale_f32 v25, s2, v17, v1, v17
	v_div_fmas_f32 v22, v27, v36, v40
	s_delay_alu instid0(VALU_DEP_3) | instskip(SKIP_1) | instid1(VALU_DEP_3)
	v_fma_f32 v8, -v26, v24, v41
	s_mov_b32 vcc_lo, s5
	v_mul_f32_e32 v29, v25, v37
	s_delay_alu instid0(VALU_DEP_3) | instskip(NEXT) | instid1(VALU_DEP_3)
	v_div_fixup_f32 v14, v22, v28, v19
	v_div_fmas_f32 v8, v8, v38, v24
	s_mov_b32 vcc_lo, s2
	s_delay_alu instid0(VALU_DEP_3) | instskip(NEXT) | instid1(VALU_DEP_3)
	v_fma_f32 v27, -v39, v29, v25
	v_add_f32_e32 v5, v5, v14
	s_delay_alu instid0(VALU_DEP_3) | instskip(NEXT) | instid1(VALU_DEP_3)
	v_div_fixup_f32 v8, v8, v20, v11
	v_dual_add_f32 v14, v4, v3 :: v_dual_fmac_f32 v29, v27, v37
	v_add_f32_e32 v4, v7, v9
	s_delay_alu instid0(VALU_DEP_3) | instskip(NEXT) | instid1(VALU_DEP_3)
	v_add_f32_e32 v5, v8, v5
	v_fma_f32 v18, -v39, v29, v25
	s_delay_alu instid0(VALU_DEP_1) | instskip(SKIP_2) | instid1(VALU_DEP_3)
	v_div_fmas_f32 v11, v18, v37, v29
	v_cmp_lt_f32_e32 vcc_lo, v6, v13
	v_add_f32_e32 v18, v15, v14
	v_div_fixup_f32 v8, v11, v1, v17
	v_cndmask_b32_e32 v3, v6, v13, vcc_lo
	v_add_f32_e32 v17, v10, v12
	s_delay_alu instid0(VALU_DEP_3)
	v_add_f32_e32 v19, v8, v5
.LBB16_8:
	s_or_b32 exec_lo, exec_lo, s6
	s_branch .LBB16_53
.LBB16_9:
	s_mov_b32 s19, 0
                                        ; implicit-def: $vgpr14
                                        ; implicit-def: $vgpr8
	s_cbranch_execnz .LBB16_92
	s_branch .LBB16_100
.LBB16_10:
	s_mov_b32 s26, -1
.LBB16_11:
	s_mov_b32 s19, 0
                                        ; implicit-def: $vgpr14
                                        ; implicit-def: $vgpr8
	s_and_b32 vcc_lo, exec_lo, s26
	s_cbranch_vccz .LBB16_58
.LBB16_12:
	s_cmp_eq_u32 s9, 2
	s_cbranch_scc0 .LBB16_19
; %bb.13:
	s_lshl_b32 s26, s10, 9
	s_mul_i32 s4, s10, 0x3800
	s_lshr_b64 s[2:3], s[22:23], 9
	s_mul_hi_u32 s5, s26, 28
	s_mov_b32 s11, 0
	s_add_u32 s24, s20, s4
	s_addc_u32 s25, s21, s5
	s_cmp_lg_u64 s[2:3], s[10:11]
	s_cbranch_scc0 .LBB16_59
; %bb.14:
	s_waitcnt lgkmcnt(5)
	v_mad_u64_u32 v[10:11], null, v0, 28, s[24:25]
	s_waitcnt lgkmcnt(4)
	s_delay_alu instid0(VALU_DEP_1) | instskip(NEXT) | instid1(VALU_DEP_2)
	v_add_co_u32 v5, vcc_lo, 0x1000, v10
	v_add_co_ci_u32_e32 v6, vcc_lo, 0, v11, vcc_lo
	v_add_co_u32 v16, vcc_lo, 0x1c00, v10
	global_load_b128 v[1:4], v[10:11], off
	s_waitcnt lgkmcnt(0)
	global_load_b128 v[6:9], v[5:6], off offset:3072
	v_add_co_ci_u32_e32 v17, vcc_lo, 0, v11, vcc_lo
	s_clause 0x1
	global_load_b96 v[13:15], v[10:11], off offset:16
	global_load_b96 v[16:18], v[16:17], off offset:16
	s_waitcnt vmcnt(2)
	v_cmp_lt_f32_e32 vcc_lo, v7, v2
	v_add_f32_e32 v5, v1, v6
	v_sub_f32_e32 v9, v9, v4
	s_waitcnt vmcnt(0)
	v_dual_add_f32 v12, v13, v16 :: v_dual_add_f32 v11, v14, v17
	v_cndmask_b32_e32 v2, v2, v7, vcc_lo
	v_cmp_lt_f32_e32 vcc_lo, v3, v8
	v_mul_f32_e32 v10, v1, v1
	s_delay_alu instid0(VALU_DEP_3)
	v_mov_b32_dpp v23, v2 quad_perm:[1,0,3,2] row_mask:0xf bank_mask:0xf
	v_cndmask_b32_e32 v7, v3, v8, vcc_lo
	v_mul_f32_e32 v3, v13, v6
	v_add_f32_e32 v8, v15, v18
	v_dual_mul_f32 v14, v14, v6 :: v_dual_mul_f32 v19, v9, v9
	v_dual_sub_f32 v22, v1, v6 :: v_dual_mul_f32 v21, 0x40400000, v9
	v_fma_f32 v24, -v1, v6, v10
	v_dual_mul_f32 v18, v6, v6 :: v_dual_mul_f32 v15, v5, v5
	v_mul_f32_e32 v10, v10, v16
	v_fma_f32 v3, v1, v16, -v3
	v_fma_f32 v16, v1, v17, -v14
	v_mov_b32_dpp v14, v5 quad_perm:[1,0,3,2] row_mask:0xf bank_mask:0xf
	v_dual_mul_f32 v20, v6, v9 :: v_dual_mul_f32 v27, v9, v19
	v_fmac_f32_e32 v10, v13, v18
	v_mov_b32_dpp v25, v7 quad_perm:[1,0,3,2] row_mask:0xf bank_mask:0xf
	s_delay_alu instid0(VALU_DEP_4)
	v_dual_mul_f32 v29, v1, v19 :: v_dual_mul_f32 v32, v14, v14
	v_mul_f32_e32 v21, v21, v3
	v_mul_f32_e32 v19, 0x40c00000, v19
	v_add_f32_e32 v3, v5, v14
	v_cmp_lt_f32_e64 s2, v2, v23
	v_dual_fmac_f32 v24, v6, v6 :: v_dual_mul_f32 v13, 4.0, v9
	v_mul_f32_e32 v37, v6, v29
	v_fma_f32 v30, -v5, v14, v32
	s_delay_alu instid0(VALU_DEP_4)
	v_cndmask_b32_e64 v2, v23, v2, s2
	v_cmp_gt_f32_e64 s2, v7, v25
	v_mul_f32_e32 v33, v19, v10
	v_mov_b32_dpp v19, v3 quad_perm:[2,3,0,1] row_mask:0xf bank_mask:0xf
	v_fmac_f32_e32 v30, v5, v5
	v_mov_b32_dpp v10, v2 quad_perm:[2,3,0,1] row_mask:0xf bank_mask:0xf
	v_div_scale_f32 v46, null, v5, v5, v37
	s_delay_alu instid0(VALU_DEP_4)
	v_dual_mul_f32 v38, v19, v19 :: v_dual_mul_f32 v17, v13, v16
	v_mul_f32_e32 v16, v3, v3
	v_cndmask_b32_e64 v13, v25, v7, s2
	v_cmp_lt_f32_e64 s6, v2, v10
	v_rcp_f32_e32 v52, v46
	v_mul_f32_e32 v7, v9, v27
	v_mul_f32_e32 v9, v1, v27
	v_mov_b32_dpp v25, v13 quad_perm:[2,3,0,1] row_mask:0xf bank_mask:0xf
	v_cndmask_b32_e64 v2, v10, v2, s6
	v_div_scale_f32 v26, null, v5, v5, v20
	s_delay_alu instid0(VALU_DEP_4) | instskip(NEXT) | instid1(VALU_DEP_4)
	v_mul_f32_e32 v9, v6, v9
	v_cmp_gt_f32_e64 s6, v13, v25
	v_div_scale_f32 v49, null, v15, v15, v33
	s_delay_alu instid0(VALU_DEP_4) | instskip(NEXT) | instid1(VALU_DEP_3)
	v_rcp_f32_e32 v41, v26
	v_mul_f32_e32 v53, v22, v9
	s_delay_alu instid0(VALU_DEP_3) | instskip(SKIP_3) | instid1(VALU_DEP_3)
	v_cndmask_b32_e64 v10, v25, v13, s6
	v_mov_b32_dpp v9, v2 row_ror:4 row_mask:0xf bank_mask:0xf
	v_rcp_f32_e32 v54, v49
	v_div_scale_f32 v28, vcc_lo, v20, v5, v20
	v_mov_b32_dpp v27, v10 row_ror:4 row_mask:0xf bank_mask:0xf
	s_delay_alu instid0(VALU_DEP_3) | instskip(SKIP_1) | instid1(TRANS32_DEP_2)
	v_cmp_lt_f32_e64 s7, v2, v9
	v_div_scale_f32 v39, null, v5, v5, v17
	v_fma_f32 v13, -v26, v41, 1.0
	v_fma_f32 v35, -v3, v19, v38
	s_delay_alu instid0(VALU_DEP_4) | instskip(SKIP_1) | instid1(TRANS32_DEP_1)
	v_cndmask_b32_e64 v9, v9, v2, s7
	v_cmp_gt_f32_e64 s7, v10, v27
	v_fma_f32 v44, -v49, v54, 1.0
	v_fmac_f32_e32 v41, v13, v41
	v_rcp_f32_e32 v51, v39
	v_dual_mul_f32 v18, v5, v15 :: v_dual_sub_f32 v23, v14, v5
	v_cndmask_b32_e64 v2, v27, v10, s7
	v_fma_f32 v10, -v46, v52, 1.0
	v_fmac_f32_e32 v54, v44, v54
	v_div_scale_f32 v40, s2, v17, v5, v17
	v_div_scale_f32 v50, s4, v33, v15, v33
	s_delay_alu instid0(VALU_DEP_4) | instskip(SKIP_3) | instid1(VALU_DEP_3)
	v_dual_fmac_f32 v52, v10, v52 :: v_dual_mul_f32 v1, v1, v7
	v_add_f32_e32 v7, v3, v19
	v_mul_f32_e32 v59, v28, v41
	v_mov_b32_dpp v45, v9 row_ror:8 row_mask:0xf bank_mask:0xf
	v_mul_f32_e32 v22, v7, v7
	v_div_scale_f32 v47, s5, v37, v5, v37
	s_delay_alu instid0(VALU_DEP_4) | instskip(NEXT) | instid1(VALU_DEP_4)
	v_fma_f32 v64, -v26, v59, v28
	v_cmp_lt_f32_e64 s8, v9, v45
	s_delay_alu instid0(VALU_DEP_4) | instskip(SKIP_1) | instid1(VALU_DEP_4)
	v_mul_f32_e32 v34, v7, v22
	v_div_scale_f32 v42, null, v5, v5, v21
	v_dual_fmac_f32 v59, v64, v41 :: v_dual_mul_f32 v64, v47, v52
	v_div_scale_f32 v55, null, v15, v15, v53
	s_delay_alu instid0(VALU_DEP_3) | instskip(NEXT) | instid1(VALU_DEP_2)
	v_rcp_f32_e32 v48, v42
	v_fma_f32 v28, -v26, v59, v28
	v_div_scale_f32 v43, s3, v21, v5, v21
	s_delay_alu instid0(VALU_DEP_3) | instskip(SKIP_3) | instid1(TRANS32_DEP_2)
	v_rcp_f32_e32 v60, v55
	v_fma_f32 v74, -v46, v64, v47
	v_div_scale_f32 v56, s6, v53, v15, v53
	v_cndmask_b32_e64 v9, v45, v9, s8
	v_fma_f32 v13, -v42, v48, 1.0
	s_delay_alu instid0(VALU_DEP_4)
	v_fmac_f32_e32 v64, v74, v52
	s_waitcnt_depctr 0xfff
	v_fma_f32 v69, -v55, v60, 1.0
	v_fmac_f32_e32 v48, v13, v48
	v_mov_b32_dpp v25, v7 row_ror:4 row_mask:0xf bank_mask:0xf
	v_mul_f32_e32 v1, v6, v1
	v_mul_f32_e32 v29, v3, v16
	v_fmac_f32_e32 v60, v69, v60
	v_mov_b32_dpp v13, v2 row_ror:8 row_mask:0xf bank_mask:0xf
	v_mul_f32_e32 v58, v25, v25
	v_add_f32_e32 v6, v7, v25
	v_mul_f32_e32 v57, v24, v1
	v_fma_f32 v1, -v39, v51, 1.0
	v_sub_f32_e32 v36, v25, v7
	v_fma_f32 v63, -v7, v25, v58
	v_mov_b32_dpp v24, v6 row_ror:8 row_mask:0xf bank_mask:0xf
	v_mul_f32_e32 v27, v6, v6
	v_fmac_f32_e32 v51, v1, v51
	s_delay_alu instid0(VALU_DEP_3) | instskip(SKIP_4) | instid1(VALU_DEP_4)
	v_dual_sub_f32 v31, v19, v3 :: v_dual_mul_f32 v68, v24, v24
	v_add_f32_e32 v1, v6, v24
	v_fmac_f32_e32 v35, v3, v3
	v_mul_f32_e32 v44, v6, v27
	v_div_fmas_f32 v28, v28, v41, v59
	v_dual_mul_f32 v41, v56, v60 :: v_dual_mul_f32 v10, v1, v1
	s_mov_b32 vcc_lo, s5
	v_fma_f32 v73, -v6, v24, v68
	s_delay_alu instid0(VALU_DEP_3) | instskip(SKIP_4) | instid1(VALU_DEP_4)
	v_div_fixup_f32 v20, v28, v5, v20
	v_fma_f32 v28, -v46, v64, v47
	v_mul_f32_e32 v26, v1, v10
	v_div_scale_f32 v61, null, v18, v18, v57
	v_div_scale_f32 v62, s7, v57, v18, v57
	v_div_fmas_f32 v28, v28, v52, v64
	s_delay_alu instid0(VALU_DEP_3) | instskip(SKIP_2) | instid1(VALU_DEP_2)
	v_rcp_f32_e32 v66, v61
	v_add_f32_e32 v4, v4, v20
	s_mov_b32 vcc_lo, s6
	v_div_fixup_f32 v20, v28, v5, v37
	s_delay_alu instid0(VALU_DEP_1) | instskip(SKIP_2) | instid1(VALU_DEP_1)
	v_dual_mul_f32 v71, v50, v54 :: v_dual_add_f32 v12, v12, v20
	s_waitcnt_depctr 0xfff
	v_fma_f32 v69, -v61, v66, 1.0
	v_dual_mul_f32 v65, v43, v48 :: v_dual_fmac_f32 v66, v69, v66
	s_delay_alu instid0(VALU_DEP_1) | instskip(NEXT) | instid1(VALU_DEP_2)
	v_fma_f32 v70, -v42, v65, v43
	v_dual_mul_f32 v46, v62, v66 :: v_dual_mul_f32 v67, v40, v51
	s_delay_alu instid0(VALU_DEP_2) | instskip(SKIP_1) | instid1(VALU_DEP_3)
	v_fmac_f32_e32 v65, v70, v48
	v_fma_f32 v70, -v49, v71, v50
	v_fma_f32 v72, -v39, v67, v40
	s_delay_alu instid0(VALU_DEP_3) | instskip(SKIP_1) | instid1(VALU_DEP_3)
	v_fma_f32 v42, -v42, v65, v43
	v_fma_f32 v43, -v55, v41, v56
	v_fmac_f32_e32 v67, v72, v51
	s_delay_alu instid0(VALU_DEP_2) | instskip(NEXT) | instid1(VALU_DEP_2)
	v_fmac_f32_e32 v41, v43, v60
	v_fma_f32 v39, -v39, v67, v40
	v_fma_f32 v40, -v61, v46, v62
	v_fmac_f32_e32 v63, v7, v7
	s_delay_alu instid0(VALU_DEP_4) | instskip(NEXT) | instid1(VALU_DEP_3)
	v_fma_f32 v37, -v55, v41, v56
	v_fmac_f32_e32 v46, v40, v66
	v_mov_b32_dpp v40, v4 quad_perm:[1,0,3,2] row_mask:0xf bank_mask:0xf
	v_fmac_f32_e32 v73, v6, v6
	s_delay_alu instid0(VALU_DEP_4)
	v_div_fmas_f32 v20, v37, v60, v41
	s_mov_b32 vcc_lo, s3
	v_fma_f32 v37, -v61, v46, v62
	v_sub_f32_e32 v4, v4, v40
	v_div_fmas_f32 v41, v42, v48, v65
	v_div_fixup_f32 v20, v20, v15, v53
	s_mov_b32 vcc_lo, s7
	s_delay_alu instid0(VALU_DEP_3) | instskip(SKIP_1) | instid1(VALU_DEP_3)
	v_dual_sub_f32 v45, v24, v6 :: v_dual_mul_f32 v48, 4.0, v4
	v_mul_f32_e32 v43, v4, v4
	v_add_f32_e32 v11, v11, v20
	v_div_fmas_f32 v37, v37, v66, v46
	v_mul_f32_e32 v46, v5, v4
	v_mov_b32_dpp v42, v12 quad_perm:[1,0,3,2] row_mask:0xf bank_mask:0xf
	v_dual_mul_f32 v20, v4, v43 :: v_dual_fmac_f32 v71, v70, v54
	v_mul_f32_e32 v47, 0x40400000, v4
	v_div_fixup_f32 v21, v41, v5, v21
	s_mov_b32 vcc_lo, s4
	s_delay_alu instid0(VALU_DEP_3) | instskip(SKIP_4) | instid1(VALU_DEP_4)
	v_mul_f32_e32 v4, v4, v20
	v_mul_f32_e32 v20, v20, v14
	v_fma_f32 v28, -v49, v71, v50
	v_div_fixup_f32 v18, v37, v18, v57
	v_div_scale_f32 v37, null, v3, v3, v46
	v_dual_add_f32 v49, v12, v42 :: v_dual_mul_f32 v20, v5, v20
	s_delay_alu instid0(VALU_DEP_4)
	v_div_fmas_f32 v28, v28, v54, v71
	s_mov_b32 vcc_lo, s2
	v_mul_f32_e32 v50, v43, v14
	v_div_fmas_f32 v39, v39, v51, v67
	v_mul_f32_e32 v51, v5, v42
	v_mul_f32_e32 v42, v15, v42
	v_dual_mul_f32 v4, v4, v14 :: v_dual_add_f32 v11, v21, v11
	v_mul_f32_e32 v20, v23, v20
	v_div_fixup_f32 v15, v28, v15, v33
	v_add_f32_e32 v8, v8, v18
	v_rcp_f32_e32 v18, v37
	v_fmac_f32_e32 v42, v12, v32
	v_fma_f32 v28, v12, v14, -v51
	v_mul_f32_e32 v43, 0x40c00000, v43
	v_mov_b32_dpp v12, v11 quad_perm:[1,0,3,2] row_mask:0xf bank_mask:0xf
	v_mul_f32_e32 v21, v5, v50
	v_div_fixup_f32 v17, v39, v5, v17
	v_add_f32_e32 v8, v15, v8
	v_mul_f32_e32 v28, v47, v28
	v_mul_f32_e32 v33, v43, v42
	v_add_f32_e32 v42, v11, v12
	v_div_scale_f32 v15, null, v3, v3, v21
	v_add_f32_e32 v8, v17, v8
	v_div_scale_f32 v32, s2, v21, v3, v21
	v_mul_f32_e32 v4, v5, v4
	v_mul_f32_e32 v5, v5, v12
	v_fma_f32 v17, -v37, v18, 1.0
	v_rcp_f32_e32 v39, v15
	v_div_scale_f32 v41, vcc_lo, v46, v3, v46
	s_delay_alu instid0(VALU_DEP_3)
	v_fma_f32 v5, v11, v14, -v5
	v_div_scale_f32 v23, null, v3, v3, v28
	v_mov_b32_dpp v12, v8 quad_perm:[1,0,3,2] row_mask:0xf bank_mask:0xf
	v_fmac_f32_e32 v18, v17, v18
	v_div_scale_f32 v17, null, v16, v16, v20
	v_dual_mul_f32 v5, v48, v5 :: v_dual_mul_f32 v4, v30, v4
	s_delay_alu instid0(VALU_DEP_3)
	v_mul_f32_e32 v11, v41, v18
	v_div_scale_f32 v47, null, v16, v16, v33
	v_rcp_f32_e32 v52, v23
	v_fma_f32 v14, -v15, v39, 1.0
	v_rcp_f32_e32 v53, v17
	v_add_f32_e32 v8, v8, v12
	v_div_scale_f32 v12, null, v29, v29, v4
	s_delay_alu instid0(VALU_DEP_3) | instskip(SKIP_2) | instid1(VALU_DEP_3)
	v_fmac_f32_e32 v39, v14, v39
	v_rcp_f32_e32 v30, v47
	v_fma_f32 v48, -v37, v11, v41
	v_rcp_f32_e32 v55, v12
	v_fma_f32 v14, -v23, v52, 1.0
	v_div_scale_f32 v43, s3, v28, v3, v28
	s_delay_alu instid0(TRANS32_DEP_3) | instskip(NEXT) | instid1(VALU_DEP_3)
	v_fma_f32 v60, -v17, v53, 1.0
	v_dual_fmac_f32 v11, v48, v18 :: v_dual_fmac_f32 v52, v14, v52
	v_mul_f32_e32 v48, v32, v39
	s_delay_alu instid0(TRANS32_DEP_2) | instskip(NEXT) | instid1(VALU_DEP_4)
	v_fma_f32 v56, -v47, v30, 1.0
	v_fmac_f32_e32 v53, v60, v53
	s_delay_alu instid0(TRANS32_DEP_1) | instskip(SKIP_3) | instid1(VALU_DEP_4)
	v_fma_f32 v60, -v12, v55, 1.0
	v_div_scale_f32 v54, s6, v4, v29, v4
	v_fma_f32 v37, -v37, v11, v41
	v_fma_f32 v41, -v15, v48, v32
	v_fmac_f32_e32 v55, v60, v55
	v_fmac_f32_e32 v30, v56, v30
	v_mul_f32_e32 v56, v43, v52
	v_div_scale_f32 v50, s4, v33, v16, v33
	v_div_scale_f32 v51, s5, v20, v16, v20
	v_div_fmas_f32 v11, v37, v18, v11
	v_fmac_f32_e32 v48, v41, v39
	v_fma_f32 v37, -v23, v56, v43
	s_delay_alu instid0(VALU_DEP_4)
	v_mul_f32_e32 v18, v51, v53
	s_mov_b32 vcc_lo, s2
	v_div_scale_f32 v57, null, v3, v3, v5
	v_fma_f32 v15, -v15, v48, v32
	v_dual_fmac_f32 v56, v37, v52 :: v_dual_mul_f32 v37, v54, v55
	v_mul_f32_e32 v61, v50, v30
	v_fma_f32 v32, -v17, v18, v51
	s_delay_alu instid0(VALU_DEP_4)
	v_div_fmas_f32 v15, v15, v39, v48
	v_rcp_f32_e32 v14, v57
	v_fma_f32 v23, -v23, v56, v43
	v_fma_f32 v41, -v47, v61, v50
	v_fmac_f32_e32 v18, v32, v53
	v_fma_f32 v32, -v12, v37, v54
	v_div_fixup_f32 v15, v15, v3, v21
	s_mov_b32 vcc_lo, s5
	v_fmac_f32_e32 v61, v41, v30
	v_fma_f32 v17, -v17, v18, v51
	v_div_fixup_f32 v11, v11, v3, v46
	v_add_f32_e32 v15, v49, v15
	v_fmac_f32_e32 v37, v32, v55
	v_fma_f32 v60, -v57, v14, 1.0
	v_div_fmas_f32 v17, v17, v53, v18
	s_mov_b32 vcc_lo, s3
	v_div_scale_f32 v59, s7, v5, v3, v5
	v_fma_f32 v12, -v12, v37, v54
	v_div_fmas_f32 v18, v23, v52, v56
	s_mov_b32 vcc_lo, s6
	v_dual_fmac_f32 v14, v60, v14 :: v_dual_add_f32 v11, v11, v40
	s_delay_alu instid0(VALU_DEP_3)
	v_div_fmas_f32 v12, v12, v55, v37
	v_fma_f32 v40, -v47, v61, v50
	s_mov_b32 vcc_lo, s4
	v_div_fixup_f32 v18, v18, v3, v28
	v_mov_b32_dpp v32, v11 quad_perm:[2,3,0,1] row_mask:0xf bank_mask:0xf
	v_div_fixup_f32 v4, v12, v29, v4
	v_mul_f32_e32 v39, v59, v14
	v_div_fmas_f32 v28, v40, v30, v61
	v_div_fixup_f32 v17, v17, v16, v20
	v_sub_f32_e32 v11, v11, v32
	v_add_f32_e32 v4, v8, v4
	v_fma_f32 v21, -v57, v39, v59
	s_mov_b32 vcc_lo, s7
	s_delay_alu instid0(VALU_DEP_3) | instskip(NEXT) | instid1(VALU_DEP_2)
	v_mul_f32_e32 v23, v11, v11
	v_fmac_f32_e32 v39, v21, v14
	v_mov_b32_dpp v21, v15 quad_perm:[2,3,0,1] row_mask:0xf bank_mask:0xf
	s_delay_alu instid0(VALU_DEP_2) | instskip(NEXT) | instid1(VALU_DEP_2)
	v_fma_f32 v20, -v57, v39, v59
	v_mul_f32_e32 v40, v3, v21
	v_add_f32_e32 v30, v15, v21
	v_mul_f32_e32 v21, v16, v21
	v_div_fixup_f32 v16, v28, v16, v33
	v_div_fmas_f32 v12, v20, v14, v39
	s_delay_alu instid0(VALU_DEP_2) | instskip(SKIP_1) | instid1(VALU_DEP_3)
	v_add_f32_e32 v4, v16, v4
	v_dual_mul_f32 v14, v11, v23 :: v_dual_add_f32 v17, v42, v17
	v_div_fixup_f32 v5, v12, v3, v5
	s_delay_alu instid0(VALU_DEP_2)
	v_mul_f32_e32 v8, v11, v14
	v_mul_f32_e32 v14, v14, v19
	;; [unrolled: 1-line block ×3, first 2 shown]
	v_add_f32_e32 v17, v18, v17
	v_fma_f32 v18, v15, v19, -v40
	v_mul_f32_e32 v8, v8, v19
	v_mul_f32_e32 v14, v3, v14
	;; [unrolled: 1-line block ×3, first 2 shown]
	v_dual_mul_f32 v43, 4.0, v11 :: v_dual_add_f32 v4, v5, v4
	v_mul_f32_e32 v18, v41, v18
	v_mul_f32_e32 v8, v3, v8
	s_delay_alu instid0(VALU_DEP_4) | instskip(SKIP_1) | instid1(VALU_DEP_3)
	v_div_scale_f32 v20, null, v7, v7, v37
	v_div_scale_f32 v29, vcc_lo, v37, v7, v37
	v_mul_f32_e32 v8, v35, v8
	s_delay_alu instid0(VALU_DEP_3) | instskip(NEXT) | instid1(VALU_DEP_1)
	v_rcp_f32_e32 v11, v20
	v_div_scale_f32 v47, s6, v8, v34, v8
	s_waitcnt_depctr 0xfff
	v_fma_f32 v5, -v20, v11, 1.0
	v_mul_f32_e32 v14, v31, v14
	v_div_scale_f32 v31, null, v7, v7, v18
	s_delay_alu instid0(VALU_DEP_3) | instskip(NEXT) | instid1(VALU_DEP_3)
	v_fmac_f32_e32 v11, v5, v11
	v_div_scale_f32 v5, null, v22, v22, v14
	s_delay_alu instid0(VALU_DEP_3) | instskip(SKIP_1) | instid1(VALU_DEP_2)
	v_rcp_f32_e32 v42, v31
	v_div_scale_f32 v41, s5, v14, v22, v14
	v_rcp_f32_e32 v46, v5
	s_waitcnt_depctr 0xfff
	v_fma_f32 v52, -v5, v46, 1.0
	v_mul_f32_e32 v39, v23, v19
	s_delay_alu instid0(VALU_DEP_2) | instskip(NEXT) | instid1(VALU_DEP_2)
	v_dual_mul_f32 v23, 0x40c00000, v23 :: v_dual_fmac_f32 v46, v52, v46
	v_mul_f32_e32 v12, v3, v39
	v_fmac_f32_e32 v21, v38, v15
	v_mov_b32_dpp v15, v17 quad_perm:[2,3,0,1] row_mask:0xf bank_mask:0xf
	v_div_scale_f32 v38, s3, v18, v7, v18
	s_delay_alu instid0(VALU_DEP_4) | instskip(NEXT) | instid1(VALU_DEP_3)
	v_div_scale_f32 v16, null, v7, v7, v12
	v_add_f32_e32 v33, v17, v15
	v_mul_f32_e32 v3, v3, v15
	v_mov_b32_dpp v15, v4 quad_perm:[2,3,0,1] row_mask:0xf bank_mask:0xf
	v_mul_f32_e32 v21, v23, v21
	v_rcp_f32_e32 v23, v16
	v_div_scale_f32 v28, s2, v12, v7, v12
	s_delay_alu instid0(VALU_DEP_3) | instskip(SKIP_3) | instid1(VALU_DEP_3)
	v_add_f32_e32 v4, v4, v15
	v_div_scale_f32 v15, null, v34, v34, v8
	v_div_scale_f32 v39, null, v22, v22, v21
	v_div_scale_f32 v40, s4, v21, v22, v21
	v_rcp_f32_e32 v48, v15
	s_delay_alu instid0(VALU_DEP_2) | instskip(SKIP_3) | instid1(VALU_DEP_2)
	v_rcp_f32_e32 v35, v39
	s_waitcnt_depctr 0xfff
	v_fma_f32 v52, -v15, v48, 1.0
	v_fma_f32 v49, -v39, v35, 1.0
	v_fmac_f32_e32 v48, v52, v48
	v_fma_f32 v3, v17, v19, -v3
	v_mul_f32_e32 v17, v29, v11
	v_fma_f32 v19, -v16, v23, 1.0
	v_fmac_f32_e32 v35, v49, v35
	s_delay_alu instid0(VALU_DEP_4) | instskip(NEXT) | instid1(VALU_DEP_4)
	v_mul_f32_e32 v3, v43, v3
	v_fma_f32 v43, -v20, v17, v29
	s_delay_alu instid0(VALU_DEP_4) | instskip(SKIP_2) | instid1(VALU_DEP_4)
	v_fmac_f32_e32 v23, v19, v23
	v_fma_f32 v19, -v31, v42, 1.0
	v_mul_f32_e32 v53, v40, v35
	v_fmac_f32_e32 v17, v43, v11
	s_delay_alu instid0(VALU_DEP_3) | instskip(NEXT) | instid1(VALU_DEP_2)
	v_dual_mul_f32 v43, v28, v23 :: v_dual_fmac_f32 v42, v19, v42
	v_fma_f32 v20, -v20, v17, v29
	s_delay_alu instid0(VALU_DEP_2) | instskip(NEXT) | instid1(VALU_DEP_3)
	v_fma_f32 v29, -v16, v43, v28
	v_mul_f32_e32 v49, v38, v42
	s_delay_alu instid0(VALU_DEP_3) | instskip(NEXT) | instid1(VALU_DEP_3)
	v_div_fmas_f32 v11, v20, v11, v17
	v_fmac_f32_e32 v43, v29, v23
	v_mul_f32_e32 v17, v41, v46
	s_delay_alu instid0(VALU_DEP_4)
	v_fma_f32 v20, -v31, v49, v38
	s_mov_b32 vcc_lo, s2
	v_div_fixup_f32 v11, v11, v7, v37
	v_fma_f32 v16, -v16, v43, v28
	v_fma_f32 v28, -v5, v17, v41
	v_dual_fmac_f32 v49, v20, v42 :: v_dual_mul_f32 v20, v47, v48
	s_delay_alu instid0(VALU_DEP_4) | instskip(NEXT) | instid1(VALU_DEP_4)
	v_add_f32_e32 v11, v11, v32
	v_div_fmas_f32 v16, v16, v23, v43
	s_delay_alu instid0(VALU_DEP_4)
	v_fmac_f32_e32 v17, v28, v46
	v_fma_f32 v29, -v39, v53, v40
	v_fma_f32 v28, -v15, v20, v47
	s_mov_b32 vcc_lo, s5
	v_div_fixup_f32 v12, v16, v7, v12
	v_fma_f32 v5, -v5, v17, v41
	s_delay_alu instid0(VALU_DEP_3) | instskip(SKIP_3) | instid1(VALU_DEP_3)
	v_fmac_f32_e32 v20, v28, v48
	v_div_scale_f32 v50, null, v7, v7, v3
	v_mov_b32_dpp v28, v11 row_ror:4 row_mask:0xf bank_mask:0xf
	v_div_scale_f32 v51, s7, v3, v7, v3
	v_rcp_f32_e32 v19, v50
	v_add_f32_e32 v12, v30, v12
	s_delay_alu instid0(VALU_DEP_3)
	v_sub_f32_e32 v11, v11, v28
	v_div_fmas_f32 v5, v5, v46, v17
	v_fma_f32 v15, -v15, v20, v47
	s_mov_b32 vcc_lo, s3
	v_mov_b32_dpp v17, v12 row_ror:4 row_mask:0xf bank_mask:0xf
	v_mul_f32_e32 v30, 0x40400000, v11
	v_fmac_f32_e32 v53, v29, v35
	v_mul_f32_e32 v32, 4.0, v11
	v_fma_f32 v52, -v50, v19, 1.0
	v_fma_f32 v23, -v31, v49, v38
	v_div_fixup_f32 v5, v5, v22, v14
	s_delay_alu instid0(VALU_DEP_3) | instskip(NEXT) | instid1(VALU_DEP_2)
	v_fmac_f32_e32 v19, v52, v19
	v_add_f32_e32 v5, v33, v5
	s_delay_alu instid0(VALU_DEP_2) | instskip(NEXT) | instid1(VALU_DEP_1)
	v_mul_f32_e32 v29, v51, v19
	v_fma_f32 v16, -v50, v29, v51
	s_delay_alu instid0(VALU_DEP_1) | instskip(SKIP_4) | instid1(VALU_DEP_2)
	v_fmac_f32_e32 v29, v16, v19
	v_div_fmas_f32 v16, v23, v42, v49
	s_mov_b32 vcc_lo, s6
	v_div_fmas_f32 v14, v15, v48, v20
	s_mov_b32 vcc_lo, s4
	v_div_fixup_f32 v16, v16, v7, v18
	v_fma_f32 v15, -v50, v29, v51
	v_mul_f32_e32 v20, v11, v11
	v_div_fixup_f32 v8, v14, v34, v8
	v_mul_f32_e32 v34, v7, v17
	v_add_f32_e32 v5, v16, v5
	s_delay_alu instid0(VALU_DEP_4) | instskip(NEXT) | instid1(VALU_DEP_4)
	v_mul_f32_e32 v33, v20, v25
	v_add_f32_e32 v4, v4, v8
	s_delay_alu instid0(VALU_DEP_4) | instskip(NEXT) | instid1(VALU_DEP_1)
	v_fma_f32 v16, v12, v25, -v34
	v_mul_f32_e32 v16, v30, v16
	v_fma_f32 v31, -v39, v53, v40
	s_delay_alu instid0(VALU_DEP_2) | instskip(NEXT) | instid1(VALU_DEP_2)
	v_div_scale_f32 v30, null, v6, v6, v16
	v_div_fmas_f32 v18, v31, v35, v53
	v_add_f32_e32 v31, v12, v17
	v_mul_f32_e32 v17, v22, v17
	s_mov_b32 vcc_lo, s7
	v_rcp_f32_e32 v37, v30
	v_div_fixup_f32 v18, v18, v22, v21
	s_delay_alu instid0(VALU_DEP_2) | instskip(SKIP_1) | instid1(VALU_DEP_3)
	v_fmac_f32_e32 v17, v58, v12
	v_mov_b32_dpp v12, v5 row_ror:4 row_mask:0xf bank_mask:0xf
	v_add_f32_e32 v4, v18, v4
	s_delay_alu instid0(VALU_DEP_2) | instskip(SKIP_1) | instid1(VALU_DEP_1)
	v_add_f32_e32 v22, v5, v12
	v_div_fmas_f32 v14, v15, v19, v29
	v_div_fixup_f32 v3, v14, v7, v3
	v_mul_f32_e32 v14, v7, v33
	v_div_scale_f32 v33, s3, v16, v6, v16
	v_mul_f32_e32 v15, v11, v20
	v_mul_f32_e32 v20, 0x40c00000, v20
	s_delay_alu instid0(VALU_DEP_4) | instskip(SKIP_1) | instid1(VALU_DEP_3)
	v_div_scale_f32 v21, s2, v14, v6, v14
	v_div_scale_f32 v18, null, v6, v6, v14
	v_mul_f32_e32 v17, v20, v17
	v_add_f32_e32 v3, v3, v4
	s_delay_alu instid0(VALU_DEP_3) | instskip(NEXT) | instid1(VALU_DEP_2)
	v_rcp_f32_e32 v20, v18
	v_div_scale_f32 v34, null, v27, v27, v17
	v_div_scale_f32 v35, s4, v17, v27, v17
	s_delay_alu instid0(VALU_DEP_2) | instskip(SKIP_2) | instid1(VALU_DEP_1)
	v_rcp_f32_e32 v38, v34
	s_waitcnt_depctr 0xfff
	v_fma_f32 v42, -v34, v38, 1.0
	v_dual_fmac_f32 v38, v42, v38 :: v_dual_mul_f32 v23, v7, v11
	v_mul_f32_e32 v8, v11, v15
	v_mul_f32_e32 v15, v15, v25
	s_delay_alu instid0(VALU_DEP_3) | instskip(NEXT) | instid1(VALU_DEP_4)
	v_mul_f32_e32 v48, v35, v38
	v_div_scale_f32 v19, null, v6, v6, v23
	s_delay_alu instid0(VALU_DEP_3) | instskip(SKIP_1) | instid1(VALU_DEP_3)
	v_dual_mul_f32 v15, v7, v15 :: v_dual_mul_f32 v8, v8, v25
	v_div_scale_f32 v29, vcc_lo, v23, v6, v23
	v_rcp_f32_e32 v11, v19
	s_delay_alu instid0(VALU_DEP_2) | instskip(SKIP_2) | instid1(VALU_DEP_3)
	v_dual_mul_f32 v15, v36, v15 :: v_dual_mul_f32 v8, v7, v8
	v_mul_f32_e32 v7, v7, v12
	v_mov_b32_dpp v12, v3 row_ror:4 row_mask:0xf bank_mask:0xf
	v_div_scale_f32 v36, s5, v15, v27, v15
	s_delay_alu instid0(VALU_DEP_4) | instskip(NEXT) | instid1(VALU_DEP_4)
	v_mul_f32_e32 v8, v63, v8
	v_fma_f32 v5, v5, v25, -v7
	s_delay_alu instid0(TRANS32_DEP_1) | instskip(SKIP_3) | instid1(VALU_DEP_4)
	v_fma_f32 v4, -v19, v11, 1.0
	v_fma_f32 v25, -v18, v20, 1.0
	v_add_f32_e32 v3, v3, v12
	v_div_scale_f32 v12, null, v44, v44, v8
	v_fmac_f32_e32 v11, v4, v11
	v_div_scale_f32 v4, null, v27, v27, v15
	v_dual_mul_f32 v5, v32, v5 :: v_dual_fmac_f32 v20, v25, v20
	s_delay_alu instid0(VALU_DEP_3) | instskip(NEXT) | instid1(VALU_DEP_3)
	v_mul_f32_e32 v7, v29, v11
	v_rcp_f32_e32 v39, v4
	v_fma_f32 v25, -v30, v37, 1.0
	v_rcp_f32_e32 v41, v12
	v_div_scale_f32 v40, s6, v8, v44, v8
	v_fma_f32 v32, -v19, v7, v29
	s_delay_alu instid0(VALU_DEP_3) | instskip(SKIP_2) | instid1(VALU_DEP_4)
	v_fmac_f32_e32 v37, v25, v37
	v_div_scale_f32 v43, null, v6, v6, v5
	v_div_scale_f32 v46, s7, v5, v6, v5
	v_dual_fmac_f32 v7, v32, v11 :: v_dual_mul_f32 v32, v21, v20
	s_delay_alu instid0(TRANS32_DEP_2) | instskip(SKIP_2) | instid1(VALU_DEP_3)
	v_fma_f32 v47, -v4, v39, 1.0
	v_mul_f32_e32 v42, v33, v37
	v_rcp_f32_e32 v25, v43
	v_fma_f32 v19, -v19, v7, v29
	v_fma_f32 v29, -v18, v32, v21
	v_fmac_f32_e32 v39, v47, v39
	v_fma_f32 v47, -v12, v41, 1.0
	s_delay_alu instid0(VALU_DEP_4) | instskip(NEXT) | instid1(VALU_DEP_3)
	v_div_fmas_f32 v7, v19, v11, v7
	v_dual_fmac_f32 v32, v29, v20 :: v_dual_mul_f32 v11, v36, v39
	v_fma_f32 v19, -v30, v42, v33
	s_delay_alu instid0(VALU_DEP_4) | instskip(SKIP_1) | instid1(VALU_DEP_3)
	v_fmac_f32_e32 v41, v47, v41
	s_mov_b32 vcc_lo, s2
	v_fma_f32 v18, -v18, v32, v21
	v_fma_f32 v21, -v4, v11, v36
	v_fmac_f32_e32 v42, v19, v37
	v_mul_f32_e32 v19, v40, v41
	v_fma_f32 v47, -v43, v25, 1.0
	v_div_fmas_f32 v18, v18, v20, v32
	v_fmac_f32_e32 v11, v21, v39
	s_mov_b32 vcc_lo, s5
	v_fma_f32 v21, -v12, v19, v40
	v_fma_f32 v20, -v30, v42, v33
	v_div_fixup_f32 v7, v7, v6, v23
	v_fma_f32 v4, -v4, v11, v36
	v_fmac_f32_e32 v25, v47, v25
	v_fmac_f32_e32 v19, v21, v41
	v_fma_f32 v29, -v34, v48, v35
	v_div_fixup_f32 v14, v18, v6, v14
	v_div_fmas_f32 v4, v4, v39, v11
	s_mov_b32 vcc_lo, s3
	v_fma_f32 v11, -v12, v19, v40
	v_div_fmas_f32 v12, v20, v37, v42
	v_mul_f32_e32 v23, v46, v25
	v_div_fixup_f32 v4, v4, v27, v15
	v_fmac_f32_e32 v48, v29, v38
	s_mov_b32 vcc_lo, s6
	v_div_fixup_f32 v12, v12, v6, v16
	v_fma_f32 v18, -v43, v23, v46
	v_add_f32_e32 v4, v22, v4
	v_add_f32_e32 v14, v31, v14
	v_div_fmas_f32 v11, v11, v41, v19
	s_mov_b32 vcc_lo, s4
	s_delay_alu instid0(VALU_DEP_3) | instskip(SKIP_3) | instid1(VALU_DEP_4)
	v_dual_fmac_f32 v23, v18, v25 :: v_dual_add_f32 v4, v12, v4
	v_add_f32_e32 v7, v7, v28
	v_fma_f32 v28, -v34, v48, v35
	v_mov_b32_dpp v18, v14 row_ror:8 row_mask:0xf bank_mask:0xf
	v_fma_f32 v15, -v43, v23, v46
	v_div_fixup_f32 v8, v11, v44, v8
	v_mov_b32_dpp v21, v7 row_ror:8 row_mask:0xf bank_mask:0xf
	v_div_fmas_f32 v16, v28, v38, v48
	s_mov_b32 vcc_lo, s7
	v_mul_f32_e32 v30, v6, v18
	v_div_fmas_f32 v11, v15, v25, v23
	v_sub_f32_e32 v7, v7, v21
	v_add_f32_e32 v25, v14, v18
	v_mul_f32_e32 v18, v27, v18
	v_add_f32_e32 v3, v3, v8
	s_delay_alu instid0(VALU_DEP_4) | instskip(SKIP_1) | instid1(VALU_DEP_4)
	v_mul_f32_e32 v19, v7, v7
	v_mul_f32_e32 v20, v6, v7
	v_dual_fmac_f32 v18, v68, v14 :: v_dual_mul_f32 v29, 0x40400000, v7
	s_delay_alu instid0(VALU_DEP_3) | instskip(NEXT) | instid1(VALU_DEP_3)
	v_mul_f32_e32 v15, v7, v19
	v_div_scale_f32 v22, null, v1, v1, v20
	v_mul_f32_e32 v28, v19, v24
	v_div_fixup_f32 v16, v16, v27, v17
	s_delay_alu instid0(VALU_DEP_4)
	v_mul_f32_e32 v8, v7, v15
	v_div_fixup_f32 v5, v11, v6, v5
	v_rcp_f32_e32 v11, v22
	v_dual_mul_f32 v12, v6, v28 :: v_dual_mul_f32 v19, 0x40c00000, v19
	v_mul_f32_e32 v15, v15, v24
	v_add_f32_e32 v3, v16, v3
	v_div_scale_f32 v23, vcc_lo, v20, v1, v20
	s_delay_alu instid0(VALU_DEP_4) | instskip(NEXT) | instid1(VALU_DEP_4)
	v_div_scale_f32 v16, null, v1, v1, v12
	v_dual_mul_f32 v15, v6, v15 :: v_dual_mul_f32 v18, v19, v18
	s_delay_alu instid0(VALU_DEP_4) | instskip(NEXT) | instid1(TRANS32_DEP_1)
	v_add_f32_e32 v3, v5, v3
	v_fma_f32 v5, -v22, v11, 1.0
	s_delay_alu instid0(VALU_DEP_4) | instskip(NEXT) | instid1(VALU_DEP_3)
	v_rcp_f32_e32 v19, v16
	v_mul_f32_e32 v15, v45, v15
	v_fma_f32 v17, v14, v24, -v30
	v_div_scale_f32 v27, s2, v12, v1, v12
	v_fmac_f32_e32 v11, v5, v11
	s_delay_alu instid0(VALU_DEP_4) | instskip(SKIP_2) | instid1(VALU_DEP_4)
	v_div_scale_f32 v31, null, v10, v10, v15
	v_mul_f32_e32 v8, v8, v24
	v_mov_b32_dpp v14, v4 row_ror:8 row_mask:0xf bank_mask:0xf
	v_mul_f32_e32 v30, v23, v11
	s_delay_alu instid0(TRANS32_DEP_1)
	v_fma_f32 v32, -v16, v19, 1.0
	v_rcp_f32_e32 v35, v31
	v_mul_f32_e32 v8, v6, v8
	v_mul_f32_e32 v6, v6, v14
	v_fma_f32 v34, -v22, v30, v23
	v_fmac_f32_e32 v19, v32, v19
	s_delay_alu instid0(VALU_DEP_4) | instskip(NEXT) | instid1(VALU_DEP_4)
	v_dual_mul_f32 v7, 4.0, v7 :: v_dual_mul_f32 v8, v73, v8
	v_fma_f32 v6, v4, v24, -v6
	s_delay_alu instid0(VALU_DEP_4) | instskip(NEXT) | instid1(VALU_DEP_4)
	v_fmac_f32_e32 v30, v34, v11
	v_mul_f32_e32 v36, v27, v19
	v_add_f32_e32 v4, v4, v14
	v_div_scale_f32 v32, null, v26, v26, v8
	s_delay_alu instid0(VALU_DEP_4) | instskip(SKIP_2) | instid1(VALU_DEP_4)
	v_fma_f32 v22, -v22, v30, v23
	v_fma_f32 v23, -v31, v35, 1.0
	v_fma_f32 v39, -v16, v36, v27
	v_rcp_f32_e32 v38, v32
	v_mul_f32_e32 v6, v7, v6
	v_div_fmas_f32 v11, v22, v11, v30
	v_div_scale_f32 v22, s4, v15, v10, v15
	v_fmac_f32_e32 v36, v39, v19
	v_fmac_f32_e32 v35, v23, v35
	s_mov_b32 vcc_lo, s2
	v_div_fixup_f32 v11, v11, v1, v20
	v_div_scale_f32 v24, s2, v8, v26, v8
	v_fma_f32 v16, -v16, v36, v27
	v_mul_f32_e32 v23, v22, v35
	s_delay_alu instid0(VALU_DEP_4)
	v_add_f32_e32 v11, v11, v21
	v_fma_f32 v20, -v32, v38, 1.0
	v_div_scale_f32 v27, null, v1, v1, v6
	v_div_fmas_f32 v16, v16, v19, v36
	v_fma_f32 v19, -v31, v23, v22
	s_mov_b32 vcc_lo, s4
	v_fmac_f32_e32 v38, v20, v38
	v_div_scale_f32 v30, s5, v18, v10, v18
	s_delay_alu instid0(VALU_DEP_3) | instskip(SKIP_1) | instid1(VALU_DEP_4)
	v_fmac_f32_e32 v23, v19, v35
	v_mov_b32_dpp v34, v3 row_ror:8 row_mask:0xf bank_mask:0xf
	v_mul_f32_e32 v14, v24, v38
	v_div_fixup_f32 v12, v16, v1, v12
	s_delay_alu instid0(VALU_DEP_4) | instskip(NEXT) | instid1(VALU_DEP_4)
	v_fma_f32 v22, -v31, v23, v22
	v_add_f32_e32 v3, v3, v34
	s_delay_alu instid0(VALU_DEP_2) | instskip(SKIP_2) | instid1(VALU_DEP_1)
	v_div_fmas_f32 v22, v22, v35, v23
	ds_swizzle_b32 v23, v11 offset:swizzle(BROADCAST,32,15)
	v_div_fixup_f32 v15, v22, v10, v15
	v_add_f32_e32 v4, v4, v15
	s_waitcnt lgkmcnt(0)
	v_sub_f32_e32 v11, v11, v23
	v_mul_f32_e32 v17, v29, v17
	v_div_scale_f32 v29, null, v10, v10, v18
	s_delay_alu instid0(VALU_DEP_2) | instskip(SKIP_1) | instid1(VALU_DEP_3)
	v_div_scale_f32 v28, null, v1, v1, v17
	v_div_scale_f32 v5, s3, v17, v1, v17
	v_rcp_f32_e32 v20, v29
	s_delay_alu instid0(VALU_DEP_2) | instskip(SKIP_4) | instid1(VALU_DEP_1)
	v_rcp_f32_e32 v33, v28
	s_mov_b32 vcc_lo, s3
	s_waitcnt_depctr 0xfff
	v_fma_f32 v19, -v29, v20, 1.0
	v_fma_f32 v37, -v28, v33, 1.0
	v_dual_fmac_f32 v20, v19, v20 :: v_dual_fmac_f32 v33, v37, v33
	v_rcp_f32_e32 v19, v27
	s_delay_alu instid0(VALU_DEP_1) | instskip(NEXT) | instid1(VALU_DEP_1)
	v_mul_f32_e32 v21, v5, v33
	v_fma_f32 v7, -v28, v21, v5
	s_waitcnt_depctr 0xfff
	v_fma_f32 v31, -v27, v19, 1.0
	v_fmac_f32_e32 v21, v7, v33
	v_fma_f32 v7, -v32, v14, v24
	s_delay_alu instid0(VALU_DEP_3) | instskip(SKIP_1) | instid1(VALU_DEP_4)
	v_fmac_f32_e32 v19, v31, v19
	v_div_scale_f32 v31, s3, v6, v1, v6
	v_fma_f32 v5, -v28, v21, v5
	ds_swizzle_b32 v28, v1 offset:swizzle(BROADCAST,32,15)
	v_dual_fmac_f32 v14, v7, v38 :: v_dual_mul_f32 v7, v30, v20
	v_div_fmas_f32 v5, v5, v33, v21
	s_mov_b32 vcc_lo, s2
	s_delay_alu instid0(VALU_DEP_2) | instskip(NEXT) | instid1(VALU_DEP_3)
	v_fma_f32 v21, -v32, v14, v24
	v_fma_f32 v24, -v29, v7, v30
	s_delay_alu instid0(VALU_DEP_2) | instskip(NEXT) | instid1(VALU_DEP_2)
	v_div_fmas_f32 v14, v21, v38, v14
	v_fmac_f32_e32 v7, v24, v20
	v_mul_f32_e32 v21, v31, v19
	s_mov_b32 vcc_lo, s5
	s_delay_alu instid0(VALU_DEP_3) | instskip(NEXT) | instid1(VALU_DEP_3)
	v_div_fixup_f32 v8, v14, v26, v8
	v_fma_f32 v14, -v29, v7, v30
	s_delay_alu instid0(VALU_DEP_3)
	v_fma_f32 v24, -v27, v21, v31
	v_mul_f32_e32 v29, v1, v11
	s_waitcnt lgkmcnt(0)
	v_add_f32_e32 v26, v1, v28
	v_add_f32_e32 v3, v3, v8
	v_div_fmas_f32 v7, v14, v20, v7
	v_fmac_f32_e32 v21, v24, v19
	s_mov_b32 vcc_lo, s3
	v_div_scale_f32 v14, null, v26, v26, v29
	s_delay_alu instid0(VALU_DEP_3) | instskip(NEXT) | instid1(VALU_DEP_3)
	v_div_fixup_f32 v7, v7, v10, v18
	v_fma_f32 v8, -v27, v21, v31
	v_sub_f32_e32 v30, v28, v1
	s_delay_alu instid0(VALU_DEP_4) | instskip(NEXT) | instid1(VALU_DEP_3)
	v_rcp_f32_e32 v18, v14
	v_add_f32_e32 v3, v7, v3
	s_delay_alu instid0(VALU_DEP_3) | instskip(SKIP_2) | instid1(VALU_DEP_3)
	v_div_fmas_f32 v8, v8, v19, v21
	v_cmp_gt_f32_e32 vcc_lo, v2, v13
	v_add_f32_e32 v7, v25, v12
	v_div_fixup_f32 v6, v8, v1, v6
	v_cndmask_b32_e32 v2, v13, v2, vcc_lo
	s_delay_alu instid0(TRANS32_DEP_1)
	v_fma_f32 v8, -v14, v18, 1.0
	ds_swizzle_b32 v15, v7 offset:swizzle(BROADCAST,32,15)
	v_add_f32_e32 v3, v6, v3
	v_mul_f32_e32 v6, v11, v11
	v_div_fixup_f32 v5, v5, v1, v17
	v_fmac_f32_e32 v18, v8, v18
	v_div_scale_f32 v8, vcc_lo, v29, v26, v29
	ds_swizzle_b32 v12, v2 offset:swizzle(BROADCAST,32,15)
	v_add_f32_e32 v4, v5, v4
	ds_swizzle_b32 v5, v9 offset:swizzle(BROADCAST,32,15)
	v_mul_f32_e32 v17, v8, v18
	v_dual_mul_f32 v20, v11, v6 :: v_dual_mul_f32 v13, v6, v28
	ds_swizzle_b32 v16, v4 offset:swizzle(BROADCAST,32,15)
	v_mul_f32_e32 v6, 0x40c00000, v6
	v_fma_f32 v22, -v14, v17, v8
	v_mul_f32_e32 v25, v20, v28
	v_dual_mul_f32 v20, v11, v20 :: v_dual_mul_f32 v13, v1, v13
	s_waitcnt lgkmcnt(3)
	v_mul_f32_e32 v10, v10, v15
	v_fmac_f32_e32 v17, v22, v18
	v_mul_f32_e32 v25, v1, v25
	s_delay_alu instid0(VALU_DEP_2) | instskip(SKIP_2) | instid1(VALU_DEP_2)
	v_fma_f32 v8, -v14, v17, v8
	s_waitcnt lgkmcnt(1)
	v_cmp_lt_f32_e64 s2, v9, v5
	v_div_fmas_f32 v8, v8, v18, v17
	v_mul_f32_e32 v17, v28, v28
	v_mul_f32_e32 v18, v20, v28
	s_delay_alu instid0(VALU_DEP_4) | instskip(SKIP_1) | instid1(VALU_DEP_4)
	v_cndmask_b32_e64 v5, v5, v9, s2
	v_cmp_gt_f32_e64 s2, v2, v12
	v_fma_f32 v20, -v1, v28, v17
	s_delay_alu instid0(VALU_DEP_4)
	v_mul_f32_e32 v18, v1, v18
	v_div_fixup_f32 v8, v8, v26, v29
	v_mul_f32_e32 v21, v26, v26
	v_cndmask_b32_e64 v9, v12, v2, s2
	v_mul_f32_e32 v12, v1, v15
	v_fmac_f32_e32 v20, v1, v1
	s_waitcnt lgkmcnt(0)
	v_dual_add_f32 v8, v8, v23 :: v_dual_mul_f32 v1, v1, v16
	v_mul_f32_e32 v2, v30, v25
	v_mul_f32_e32 v30, 0x40400000, v11
	v_fma_f32 v12, v7, v28, -v12
	v_mul_f32_e32 v18, v20, v18
	v_fma_f32 v1, v4, v28, -v1
	v_add_f32_e32 v4, v4, v16
	v_div_scale_f32 v24, null, v26, v26, v13
	v_div_scale_f32 v25, null, v21, v21, v2
	v_mul_f32_e32 v12, v30, v12
	s_delay_alu instid0(VALU_DEP_3) | instskip(SKIP_2) | instid1(VALU_DEP_3)
	v_rcp_f32_e32 v22, v24
	v_div_scale_f32 v30, vcc_lo, v13, v26, v13
	v_fmac_f32_e32 v10, v17, v7
	v_div_scale_f32 v31, null, v26, v26, v12
	v_div_scale_f32 v17, s2, v2, v21, v2
	s_delay_alu instid0(VALU_DEP_3) | instskip(NEXT) | instid1(VALU_DEP_3)
	v_mul_f32_e32 v6, v6, v10
	v_rcp_f32_e32 v33, v31
	s_delay_alu instid0(TRANS32_DEP_2) | instskip(NEXT) | instid1(VALU_DEP_2)
	v_fma_f32 v14, -v24, v22, 1.0
	v_div_scale_f32 v40, s5, v6, v21, v6
	s_delay_alu instid0(VALU_DEP_2) | instskip(SKIP_4) | instid1(VALU_DEP_2)
	v_fmac_f32_e32 v22, v14, v22
	v_rcp_f32_e32 v14, v25
	s_waitcnt_depctr 0xfff
	v_fma_f32 v34, -v31, v33, 1.0
	v_mul_f32_e32 v32, v30, v22
	v_fmac_f32_e32 v33, v34, v33
	s_delay_alu instid0(VALU_DEP_2) | instskip(SKIP_2) | instid1(VALU_DEP_3)
	v_fma_f32 v20, -v24, v32, v30
	v_fma_f32 v29, -v25, v14, 1.0
	v_div_scale_f32 v34, s3, v12, v26, v12
	v_fmac_f32_e32 v32, v20, v22
	s_delay_alu instid0(VALU_DEP_3) | instskip(SKIP_1) | instid1(VALU_DEP_3)
	v_fmac_f32_e32 v14, v29, v14
	v_div_scale_f32 v20, null, v21, v21, v6
	v_fma_f32 v24, -v24, v32, v30
	s_delay_alu instid0(VALU_DEP_3) | instskip(SKIP_1) | instid1(VALU_DEP_4)
	v_mul_f32_e32 v10, v17, v14
	v_mul_f32_e32 v30, v34, v33
	v_rcp_f32_e32 v37, v20
	v_mul_f32_e32 v11, 4.0, v11
	v_div_fmas_f32 v22, v24, v22, v32
	v_fma_f32 v28, -v25, v10, v17
	s_mov_b32 vcc_lo, s2
	s_delay_alu instid0(VALU_DEP_1) | instskip(SKIP_1) | instid1(VALU_DEP_2)
	v_dual_mul_f32 v1, v11, v1 :: v_dual_fmac_f32 v10, v28, v14
	v_fma_f32 v28, -v31, v30, v34
	v_div_scale_f32 v38, null, v26, v26, v1
	s_delay_alu instid0(VALU_DEP_3) | instskip(NEXT) | instid1(VALU_DEP_3)
	v_fma_f32 v17, -v25, v10, v17
	v_fmac_f32_e32 v30, v28, v33
	s_delay_alu instid0(VALU_DEP_2) | instskip(NEXT) | instid1(VALU_DEP_2)
	v_div_fmas_f32 v10, v17, v14, v10
	v_fma_f32 v14, -v31, v30, v34
	s_mov_b32 vcc_lo, s3
	s_delay_alu instid0(VALU_DEP_2) | instskip(NEXT) | instid1(VALU_DEP_2)
	v_div_fixup_f32 v2, v10, v21, v2
	v_div_fmas_f32 v14, v14, v33, v30
	s_delay_alu instid0(VALU_DEP_2) | instskip(NEXT) | instid1(VALU_DEP_2)
	v_add_f32_e32 v2, v4, v2
	v_div_fixup_f32 v4, v14, v26, v12
	v_mul_f32_e32 v27, v26, v21
	v_add_f32_e32 v7, v7, v15
	s_delay_alu instid0(VALU_DEP_2) | instskip(SKIP_1) | instid1(VALU_DEP_1)
	v_div_scale_f32 v29, null, v27, v27, v18
	v_div_scale_f32 v11, s4, v18, v27, v18
	s_mov_b32 vcc_lo, s4
	s_delay_alu instid0(VALU_DEP_2) | instskip(SKIP_2) | instid1(VALU_DEP_1)
	v_rcp_f32_e32 v35, v29
	s_waitcnt_depctr 0xfff
	v_fma_f32 v36, -v29, v35, 1.0
	v_fmac_f32_e32 v35, v36, v35
	v_fma_f32 v36, -v20, v37, 1.0
	s_delay_alu instid0(VALU_DEP_2) | instskip(NEXT) | instid1(VALU_DEP_2)
	v_mul_f32_e32 v39, v11, v35
	v_fmac_f32_e32 v37, v36, v37
	v_rcp_f32_e32 v36, v38
	s_delay_alu instid0(VALU_DEP_2) | instskip(NEXT) | instid1(VALU_DEP_2)
	v_fma_f32 v24, -v29, v39, v11
	v_mul_f32_e32 v25, v40, v37
	s_delay_alu instid0(VALU_DEP_2)
	v_fmac_f32_e32 v39, v24, v35
	v_div_scale_f32 v24, s2, v1, v26, v1
	s_waitcnt_depctr 0xfff
	v_fma_f32 v28, -v38, v36, 1.0
	v_fma_f32 v17, -v20, v25, v40
	v_fma_f32 v11, -v29, v39, v11
	s_delay_alu instid0(VALU_DEP_2) | instskip(NEXT) | instid1(VALU_DEP_2)
	v_dual_fmac_f32 v36, v28, v36 :: v_dual_fmac_f32 v25, v17, v37
	v_div_fmas_f32 v11, v11, v35, v39
	s_mov_b32 vcc_lo, s5
	s_delay_alu instid0(VALU_DEP_2) | instskip(SKIP_3) | instid1(VALU_DEP_2)
	v_mul_f32_e32 v28, v24, v36
	ds_swizzle_b32 v19, v3 offset:swizzle(BROADCAST,32,15)
	v_fma_f32 v15, -v20, v25, v40
	v_fma_f32 v17, -v38, v28, v24
	v_div_fmas_f32 v15, v15, v37, v25
	s_mov_b32 vcc_lo, s2
	s_mov_b32 s2, exec_lo
	s_delay_alu instid0(VALU_DEP_2) | instskip(NEXT) | instid1(VALU_DEP_2)
	v_fmac_f32_e32 v28, v17, v36
	v_div_fixup_f32 v6, v15, v21, v6
	s_delay_alu instid0(VALU_DEP_2) | instskip(NEXT) | instid1(VALU_DEP_1)
	v_fma_f32 v10, -v38, v28, v24
	v_div_fmas_f32 v10, v10, v36, v28
	s_waitcnt lgkmcnt(0)
	v_add_f32_e32 v3, v3, v19
	s_delay_alu instid0(VALU_DEP_2) | instskip(SKIP_2) | instid1(VALU_DEP_1)
	v_div_fixup_f32 v1, v10, v26, v1
	v_add_f32_e32 v10, v4, v2
	v_div_fixup_f32 v11, v11, v27, v18
	v_add_f32_e32 v3, v3, v11
	v_div_fixup_f32 v11, v22, v26, v13
	s_delay_alu instid0(VALU_DEP_2) | instskip(NEXT) | instid1(VALU_DEP_2)
	v_dual_add_f32 v3, v6, v3 :: v_dual_mov_b32 v6, 0
	v_add_f32_e32 v7, v7, v11
	s_delay_alu instid0(VALU_DEP_2)
	v_add_f32_e32 v11, v1, v3
	ds_bpermute_b32 v1, v6, v26 offset:124
	ds_bpermute_b32 v2, v6, v5 offset:124
	;; [unrolled: 1-line block ×7, first 2 shown]
	v_mbcnt_lo_u32_b32 v5, -1, 0
	s_delay_alu instid0(VALU_DEP_1)
	v_cmpx_eq_u32_e32 0, v5
	s_cbranch_execz .LBB16_16
; %bb.15:
	v_lshrrev_b32_e32 v6, 5, v0
	s_delay_alu instid0(VALU_DEP_1)
	v_mul_u32_u24_e32 v6, 28, v6
	s_waitcnt lgkmcnt(5)
	ds_store_2addr_b32 v6, v1, v2 offset0:112 offset1:113
	s_waitcnt lgkmcnt(4)
	ds_store_2addr_b32 v6, v3, v4 offset0:114 offset1:115
	;; [unrolled: 2-line block ×3, first 2 shown]
	s_waitcnt lgkmcnt(3)
	ds_store_b32 v6, v11 offset:472
.LBB16_16:
	s_or_b32 exec_lo, exec_lo, s2
	s_delay_alu instid0(SALU_CYCLE_1)
	s_mov_b32 s6, exec_lo
	s_waitcnt lgkmcnt(0)
	s_barrier
	buffer_gl0_inv
	v_cmpx_gt_u32_e32 32, v0
	s_cbranch_execz .LBB16_18
; %bb.17:
	v_and_b32_e32 v1, 7, v5
	s_delay_alu instid0(VALU_DEP_1)
	v_mul_u32_u24_e32 v4, 28, v1
	ds_load_2addr_b32 v[2:3], v4 offset0:112 offset1:113
	ds_load_2addr_b32 v[6:7], v4 offset0:114 offset1:115
	;; [unrolled: 1-line block ×3, first 2 shown]
	ds_load_b32 v4, v4 offset:472
	s_waitcnt lgkmcnt(3)
	v_mul_f32_e32 v18, v2, v2
	v_cmp_ne_u32_e32 vcc_lo, 7, v1
	v_add_co_ci_u32_e32 v10, vcc_lo, 0, v5, vcc_lo
	v_cmp_gt_u32_e32 vcc_lo, 6, v1
	s_delay_alu instid0(VALU_DEP_2) | instskip(SKIP_3) | instid1(VALU_DEP_1)
	v_lshlrev_b32_e32 v10, 2, v10
	v_cndmask_b32_e64 v17, 0, 1, vcc_lo
	ds_bpermute_b32 v11, v10, v2
	v_lshlrev_b32_e32 v17, 1, v17
	v_add_lshl_u32 v17, v17, v5, 2
	s_waitcnt lgkmcnt(0)
	v_add_f32_e32 v19, v2, v11
	ds_bpermute_b32 v13, v10, v3
	ds_bpermute_b32 v12, v10, v7
	;; [unrolled: 1-line block ×5, first 2 shown]
	v_mul_f32_e32 v21, v8, v11
	v_fma_f32 v22, -v2, v11, v18
	ds_bpermute_b32 v10, v10, v4
	s_waitcnt lgkmcnt(5)
	v_cmp_gt_f32_e32 vcc_lo, v3, v13
	s_waitcnt lgkmcnt(4)
	v_dual_sub_f32 v12, v12, v7 :: v_dual_cndmask_b32 v3, v3, v13
	s_waitcnt lgkmcnt(3)
	v_cmp_lt_f32_e32 vcc_lo, v6, v14
	s_delay_alu instid0(VALU_DEP_2)
	v_dual_sub_f32 v20, v2, v11 :: v_dual_mul_f32 v25, v12, v12
	s_waitcnt lgkmcnt(1)
	v_add_f32_e32 v13, v8, v15
	v_dual_mul_f32 v23, v11, v11 :: v_dual_cndmask_b32 v6, v6, v14
	v_add_f32_e32 v14, v9, v16
	v_dual_mul_f32 v18, v18, v15 :: v_dual_mul_f32 v27, 0x40400000, v12
	v_mul_f32_e32 v24, v19, v19
	v_dual_mul_f32 v26, v12, v11 :: v_dual_mul_f32 v29, v2, v25
	v_fma_f32 v15, v2, v15, -v21
	v_mul_f32_e32 v21, v12, v25
	v_mul_f32_e32 v9, v9, v11
	v_fmac_f32_e32 v18, v8, v23
	v_mul_f32_e32 v8, 4.0, v12
	v_div_scale_f32 v23, null, v19, v19, v26
	s_delay_alu instid0(VALU_DEP_4) | instskip(SKIP_3) | instid1(VALU_DEP_4)
	v_fma_f32 v9, v2, v16, -v9
	v_dual_fmac_f32 v22, v11, v11 :: v_dual_mul_f32 v25, 0x40c00000, v25
	v_mul_f32_e32 v15, v27, v15
	v_mul_f32_e32 v16, v19, v24
	;; [unrolled: 1-line block ×4, first 2 shown]
	v_rcp_f32_e32 v12, v23
	v_dual_mul_f32 v21, v2, v21 :: v_dual_mul_f32 v18, v25, v18
	s_delay_alu instid0(VALU_DEP_2) | instskip(SKIP_2) | instid1(VALU_DEP_3)
	v_dual_mul_f32 v27, v29, v11 :: v_dual_mul_f32 v2, v2, v9
	v_div_scale_f32 v29, null, v19, v19, v15
	v_div_scale_f32 v28, vcc_lo, v26, v19, v26
	v_mul_f32_e32 v2, v2, v11
	s_delay_alu instid0(VALU_DEP_3) | instskip(NEXT) | instid1(TRANS32_DEP_2)
	v_rcp_f32_e32 v32, v29
	v_fma_f32 v33, -v23, v12, 1.0
	v_mul_f32_e32 v21, v21, v11
	v_div_scale_f32 v31, null, v19, v19, v27
	v_mul_f32_e32 v2, v22, v2
	s_delay_alu instid0(VALU_DEP_4) | instskip(SKIP_1) | instid1(VALU_DEP_4)
	v_fmac_f32_e32 v12, v33, v12
	v_div_scale_f32 v9, null, v24, v24, v18
	v_rcp_f32_e32 v34, v31
	s_delay_alu instid0(TRANS32_DEP_2) | instskip(NEXT) | instid1(VALU_DEP_3)
	v_fma_f32 v33, -v29, v32, 1.0
	v_mul_f32_e32 v36, v28, v12
	v_div_scale_f32 v38, null, v16, v16, v2
	v_rcp_f32_e32 v11, v9
	s_delay_alu instid0(VALU_DEP_3) | instskip(NEXT) | instid1(VALU_DEP_3)
	v_fmac_f32_e32 v32, v33, v32
	v_fma_f32 v39, -v23, v36, v28
	s_delay_alu instid0(VALU_DEP_3) | instskip(SKIP_1) | instid1(TRANS32_DEP_3)
	v_rcp_f32_e32 v33, v38
	v_div_scale_f32 v30, s2, v15, v19, v15
	v_fma_f32 v22, -v31, v34, 1.0
	s_delay_alu instid0(VALU_DEP_3) | instskip(SKIP_3) | instid1(VALU_DEP_4)
	v_fmac_f32_e32 v36, v39, v12
	v_div_scale_f32 v35, s3, v27, v19, v27
	v_mul_f32_e32 v20, v20, v21
	v_div_scale_f32 v25, null, v19, v19, v8
	v_fma_f32 v23, -v23, v36, v28
	s_delay_alu instid0(TRANS32_DEP_1) | instskip(SKIP_1) | instid1(VALU_DEP_2)
	v_fma_f32 v28, -v38, v33, 1.0
	v_div_scale_f32 v39, s5, v2, v16, v2
	v_fmac_f32_e32 v33, v28, v33
	s_delay_alu instid0(VALU_DEP_4) | instskip(SKIP_3) | instid1(VALU_DEP_3)
	v_div_fmas_f32 v12, v23, v12, v36
	v_mul_f32_e32 v23, v30, v32
	v_div_scale_f32 v21, null, v24, v24, v20
	s_mov_b32 vcc_lo, s3
	v_div_fixup_f32 v12, v12, v19, v26
	v_fmac_f32_e32 v34, v22, v34
	s_delay_alu instid0(VALU_DEP_3) | instskip(SKIP_1) | instid1(VALU_DEP_3)
	v_rcp_f32_e32 v37, v21
	v_div_scale_f32 v22, s4, v20, v24, v20
	v_add_f32_e32 v7, v7, v12
	s_delay_alu instid0(VALU_DEP_3) | instskip(SKIP_2) | instid1(VALU_DEP_2)
	v_mul_f32_e32 v40, v35, v34
	s_waitcnt lgkmcnt(0)
	v_add_f32_e32 v4, v4, v10
	v_fma_f32 v42, -v31, v40, v35
	s_waitcnt_depctr 0xfff
	v_fma_f32 v41, -v21, v37, 1.0
	s_delay_alu instid0(VALU_DEP_1) | instskip(SKIP_1) | instid1(VALU_DEP_2)
	v_dual_fmac_f32 v40, v42, v34 :: v_dual_fmac_f32 v37, v41, v37
	v_fma_f32 v41, -v9, v11, 1.0
	v_fma_f32 v28, -v31, v40, v35
	s_delay_alu instid0(VALU_DEP_2) | instskip(NEXT) | instid1(VALU_DEP_2)
	v_fmac_f32_e32 v11, v41, v11
	v_div_fmas_f32 v26, v28, v34, v40
	v_fma_f32 v28, -v29, v23, v30
	s_mov_b32 vcc_lo, s4
	s_delay_alu instid0(VALU_DEP_2) | instskip(NEXT) | instid1(VALU_DEP_2)
	v_div_fixup_f32 v12, v26, v19, v27
	v_fmac_f32_e32 v23, v28, v32
	v_rcp_f32_e32 v26, v25
	v_div_scale_f32 v27, s3, v18, v24, v18
	ds_bpermute_b32 v28, v17, v7
	v_fma_f32 v29, -v29, v23, v30
	ds_bpermute_b32 v30, v17, v19
	v_mul_f32_e32 v42, v22, v37
	v_fma_f32 v34, -v25, v26, 1.0
	s_delay_alu instid0(VALU_DEP_2) | instskip(NEXT) | instid1(VALU_DEP_2)
	v_fma_f32 v31, -v21, v42, v22
	v_fmac_f32_e32 v26, v34, v26
	s_delay_alu instid0(VALU_DEP_2) | instskip(SKIP_1) | instid1(VALU_DEP_2)
	v_fmac_f32_e32 v42, v31, v37
	v_mul_f32_e32 v31, v39, v33
	v_fma_f32 v21, -v21, v42, v22
	s_delay_alu instid0(VALU_DEP_2) | instskip(SKIP_2) | instid1(VALU_DEP_3)
	v_fma_f32 v22, -v38, v31, v39
	s_waitcnt lgkmcnt(1)
	v_sub_f32_e32 v10, v28, v7
	v_div_fmas_f32 v21, v21, v37, v42
	s_delay_alu instid0(VALU_DEP_3) | instskip(SKIP_3) | instid1(VALU_DEP_3)
	v_dual_fmac_f32 v31, v22, v33 :: v_dual_mul_f32 v22, v27, v11
	s_mov_b32 vcc_lo, s2
	v_div_scale_f32 v34, s2, v8, v19, v8
	v_div_fmas_f32 v23, v29, v32, v23
	v_fma_f32 v29, -v38, v31, v39
	s_mov_b32 vcc_lo, s5
	v_fma_f32 v32, -v9, v22, v27
	s_delay_alu instid0(VALU_DEP_3) | instskip(NEXT) | instid1(VALU_DEP_3)
	v_div_fixup_f32 v15, v23, v19, v15
	v_div_fmas_f32 v29, v29, v33, v31
	v_mul_f32_e32 v31, v34, v26
	s_mov_b32 vcc_lo, s3
	s_delay_alu instid0(VALU_DEP_2) | instskip(NEXT) | instid1(VALU_DEP_2)
	v_div_fixup_f32 v2, v29, v16, v2
	v_fma_f32 v16, -v25, v31, v34
	s_waitcnt lgkmcnt(0)
	v_sub_f32_e32 v29, v19, v30
	s_delay_alu instid0(VALU_DEP_3) | instskip(NEXT) | instid1(VALU_DEP_3)
	v_add_f32_e32 v2, v4, v2
	v_fmac_f32_e32 v31, v16, v26
	v_div_fixup_f32 v16, v21, v24, v20
	ds_bpermute_b32 v20, v17, v6
	v_add_f32_e32 v14, v14, v16
	v_fmac_f32_e32 v22, v32, v11
	v_fma_f32 v4, -v25, v31, v34
	v_mul_f32_e32 v16, v10, v10
	s_delay_alu instid0(VALU_DEP_3) | instskip(SKIP_1) | instid1(VALU_DEP_2)
	v_fma_f32 v9, -v9, v22, v27
	v_add_f32_e32 v27, v19, v30
	v_div_fmas_f32 v9, v9, v11, v22
	s_mov_b32 vcc_lo, s2
	v_div_fmas_f32 v4, v4, v26, v31
	s_delay_alu instid0(VALU_DEP_2) | instskip(NEXT) | instid1(VALU_DEP_2)
	v_div_fixup_f32 v9, v9, v24, v18
	v_div_fixup_f32 v4, v4, v19, v8
	v_add_f32_e32 v8, v13, v12
	s_delay_alu instid0(VALU_DEP_3)
	v_add_f32_e32 v2, v9, v2
	v_dual_add_f32 v9, v15, v14 :: v_dual_mul_f32 v14, v10, v16
	ds_bpermute_b32 v22, v17, v8
	v_add_f32_e32 v2, v4, v2
	ds_bpermute_b32 v4, v17, v3
	v_mul_f32_e32 v21, v19, v14
	v_mul_f32_e32 v28, v10, v30
	;; [unrolled: 1-line block ×4, first 2 shown]
	ds_bpermute_b32 v32, v17, v9
	v_mul_f32_e32 v21, v21, v30
	v_div_scale_f32 v11, null, v27, v27, v28
	s_delay_alu instid0(VALU_DEP_2) | instskip(NEXT) | instid1(VALU_DEP_2)
	v_mul_f32_e32 v21, v29, v21
	v_rcp_f32_e32 v18, v11
	s_waitcnt_depctr 0xfff
	v_fma_f32 v13, -v11, v18, 1.0
	s_delay_alu instid0(VALU_DEP_1) | instskip(SKIP_1) | instid1(VALU_DEP_1)
	v_fmac_f32_e32 v18, v13, v18
	v_div_scale_f32 v13, vcc_lo, v28, v27, v28
	v_dual_mul_f32 v12, v19, v16 :: v_dual_mul_f32 v23, v13, v18
	s_delay_alu instid0(VALU_DEP_1) | instskip(NEXT) | instid1(VALU_DEP_2)
	v_mul_f32_e32 v12, v12, v30
	v_fma_f32 v31, -v11, v23, v13
	s_delay_alu instid0(VALU_DEP_2) | instskip(NEXT) | instid1(VALU_DEP_2)
	v_div_scale_f32 v15, null, v27, v27, v12
	v_fmac_f32_e32 v23, v31, v18
	s_delay_alu instid0(VALU_DEP_2) | instskip(NEXT) | instid1(VALU_DEP_1)
	v_rcp_f32_e32 v25, v15
	v_fma_f32 v11, -v11, v23, v13
	v_div_scale_f32 v13, s2, v12, v27, v12
	s_delay_alu instid0(VALU_DEP_2)
	v_div_fmas_f32 v11, v11, v18, v23
	s_waitcnt lgkmcnt(1)
	v_cmp_gt_f32_e32 vcc_lo, v3, v4
	s_waitcnt_depctr 0xfff
	v_fma_f32 v29, -v15, v25, 1.0
	v_cndmask_b32_e32 v3, v3, v4, vcc_lo
	v_div_fixup_f32 v11, v11, v27, v28
	s_delay_alu instid0(VALU_DEP_3) | instskip(SKIP_1) | instid1(VALU_DEP_2)
	v_fmac_f32_e32 v25, v29, v25
	s_mov_b32 vcc_lo, s2
	v_dual_mul_f32 v4, v8, v30 :: v_dual_add_f32 v7, v7, v11
	v_add_f32_e32 v11, v8, v22
	v_div_scale_f32 v31, null, v26, v26, v21
	v_dual_mul_f32 v33, v27, v26 :: v_dual_mul_f32 v18, v13, v25
	s_delay_alu instid0(VALU_DEP_4) | instskip(NEXT) | instid1(VALU_DEP_3)
	v_fma_f32 v4, v19, v22, -v4
	v_rcp_f32_e32 v29, v31
	v_mul_f32_e32 v22, v24, v22
	s_delay_alu instid0(VALU_DEP_3) | instskip(NEXT) | instid1(VALU_DEP_1)
	v_fma_f32 v23, -v15, v18, v13
	v_fmac_f32_e32 v18, v23, v25
	v_div_scale_f32 v23, s3, v21, v26, v21
	s_waitcnt_depctr 0xfff
	v_fma_f32 v28, -v31, v29, 1.0
	v_fma_f32 v13, -v15, v18, v13
	s_delay_alu instid0(VALU_DEP_2) | instskip(SKIP_1) | instid1(VALU_DEP_3)
	v_fmac_f32_e32 v29, v28, v29
	v_fma_f32 v28, -v19, v30, v24
	v_div_fmas_f32 v13, v13, v25, v18
	v_cmp_gt_u32_e32 vcc_lo, 4, v1
	s_delay_alu instid0(VALU_DEP_4) | instskip(SKIP_3) | instid1(VALU_DEP_3)
	v_dual_mul_f32 v18, v30, v30 :: v_dual_mul_f32 v15, v23, v29
	v_mul_f32_e32 v16, 0x40c00000, v16
	v_cndmask_b32_e64 v1, 0, 1, vcc_lo
	s_mov_b32 vcc_lo, s3
	v_fma_f32 v24, -v31, v15, v23
	s_delay_alu instid0(VALU_DEP_2) | instskip(SKIP_1) | instid1(VALU_DEP_3)
	v_lshlrev_b32_e32 v1, 2, v1
	v_div_fixup_f32 v12, v13, v27, v12
	v_fmac_f32_e32 v15, v24, v29
	s_delay_alu instid0(VALU_DEP_3) | instskip(NEXT) | instid1(VALU_DEP_2)
	v_add_lshl_u32 v5, v1, v5, 2
	v_fma_f32 v23, -v31, v15, v23
	s_delay_alu instid0(VALU_DEP_1)
	v_div_fmas_f32 v15, v23, v29, v15
	ds_bpermute_b32 v29, v5, v27
	v_fmac_f32_e32 v22, v18, v8
	s_waitcnt lgkmcnt(1)
	v_add_f32_e32 v18, v9, v32
	v_mul_f32_e32 v9, v9, v30
	ds_bpermute_b32 v23, v5, v7
	v_div_fixup_f32 v15, v15, v26, v21
	v_mul_f32_e32 v16, v16, v22
	v_fma_f32 v9, v19, v32, -v9
	s_delay_alu instid0(VALU_DEP_3) | instskip(NEXT) | instid1(VALU_DEP_3)
	v_add_f32_e32 v13, v18, v15
	v_div_scale_f32 v22, null, v26, v26, v16
	v_div_scale_f32 v1, s5, v16, v26, v16
	s_delay_alu instid0(VALU_DEP_2) | instskip(SKIP_3) | instid1(VALU_DEP_2)
	v_rcp_f32_e32 v31, v22
	s_waitcnt_depctr 0xfff
	v_fma_f32 v32, -v22, v31, 1.0
	v_mul_f32_e32 v14, v10, v14
	v_dual_mul_f32 v10, 4.0, v10 :: v_dual_fmac_f32 v31, v32, v31
	s_delay_alu instid0(VALU_DEP_1) | instskip(SKIP_2) | instid1(VALU_DEP_1)
	v_mul_f32_e32 v9, v10, v9
	ds_bpermute_b32 v17, v17, v2
	v_div_scale_f32 v36, null, v27, v27, v9
	v_rcp_f32_e32 v32, v36
	s_waitcnt lgkmcnt(0)
	v_dual_add_f32 v2, v2, v17 :: v_dual_sub_f32 v17, v23, v7
	v_mul_f32_e32 v14, v19, v14
	v_mul_f32_e32 v4, v34, v4
	s_delay_alu instid0(VALU_DEP_3) | instskip(NEXT) | instid1(VALU_DEP_3)
	v_dual_fmac_f32 v28, v30, v30 :: v_dual_mul_f32 v23, v17, v29
	v_mul_f32_e32 v14, v14, v30
	s_delay_alu instid0(VALU_DEP_3) | instskip(NEXT) | instid1(VALU_DEP_2)
	v_div_scale_f32 v34, null, v27, v27, v4
	v_mul_f32_e32 v14, v28, v14
	s_delay_alu instid0(VALU_DEP_2) | instskip(NEXT) | instid1(VALU_DEP_1)
	v_rcp_f32_e32 v35, v34
	v_div_scale_f32 v25, null, v33, v33, v14
	v_div_scale_f32 v19, s4, v14, v33, v14
	s_delay_alu instid0(VALU_DEP_2) | instskip(SKIP_2) | instid1(VALU_DEP_1)
	v_rcp_f32_e32 v28, v25
	s_waitcnt_depctr 0xfff
	v_fma_f32 v8, -v34, v35, 1.0
	v_fmac_f32_e32 v35, v8, v35
	v_div_scale_f32 v8, s2, v4, v27, v4
	s_delay_alu instid0(VALU_DEP_1) | instskip(SKIP_1) | instid1(VALU_DEP_2)
	s_mov_b32 vcc_lo, s2
	v_fma_f32 v24, -v25, v28, 1.0
	v_mul_f32_e32 v30, v8, v35
	s_delay_alu instid0(VALU_DEP_2) | instskip(NEXT) | instid1(VALU_DEP_2)
	v_fmac_f32_e32 v28, v24, v28
	v_fma_f32 v24, -v34, v30, v8
	s_delay_alu instid0(VALU_DEP_2) | instskip(NEXT) | instid1(VALU_DEP_2)
	v_mul_f32_e32 v10, v19, v28
	v_fmac_f32_e32 v30, v24, v35
	s_delay_alu instid0(VALU_DEP_2) | instskip(NEXT) | instid1(VALU_DEP_2)
	v_fma_f32 v24, -v25, v10, v19
	v_fma_f32 v8, -v34, v30, v8
	v_fma_f32 v34, -v36, v32, 1.0
	s_delay_alu instid0(VALU_DEP_3) | instskip(SKIP_1) | instid1(VALU_DEP_4)
	v_fmac_f32_e32 v10, v24, v28
	v_mul_f32_e32 v24, v1, v31
	v_div_fmas_f32 v8, v8, v35, v30
	s_delay_alu instid0(VALU_DEP_4)
	v_fmac_f32_e32 v32, v34, v32
	v_div_scale_f32 v30, s2, v9, v27, v9
	v_fma_f32 v19, -v25, v10, v19
	v_fma_f32 v25, -v22, v24, v1
	s_mov_b32 vcc_lo, s4
	v_div_fixup_f32 v4, v8, v27, v4
	s_delay_alu instid0(VALU_DEP_3) | instskip(NEXT) | instid1(VALU_DEP_3)
	v_div_fmas_f32 v10, v19, v28, v10
	v_dual_fmac_f32 v24, v25, v31 :: v_dual_mul_f32 v19, v30, v32
	s_mov_b32 vcc_lo, s5
	s_delay_alu instid0(VALU_DEP_2) | instskip(NEXT) | instid1(VALU_DEP_2)
	v_div_fixup_f32 v10, v10, v33, v14
	v_fma_f32 v14, -v22, v24, v1
	s_delay_alu instid0(VALU_DEP_3) | instskip(NEXT) | instid1(VALU_DEP_3)
	v_fma_f32 v22, -v36, v19, v30
	v_dual_add_f32 v1, v27, v29 :: v_dual_add_f32 v2, v2, v10
	s_delay_alu instid0(VALU_DEP_3) | instskip(NEXT) | instid1(VALU_DEP_3)
	v_div_fmas_f32 v14, v14, v31, v24
	v_fmac_f32_e32 v19, v22, v32
	s_mov_b32 vcc_lo, s2
	s_delay_alu instid0(VALU_DEP_3) | instskip(NEXT) | instid1(VALU_DEP_2)
	v_div_scale_f32 v22, null, v1, v1, v23
	v_fma_f32 v10, -v36, v19, v30
	v_sub_f32_e32 v30, v27, v29
	s_delay_alu instid0(VALU_DEP_2) | instskip(SKIP_1) | instid1(VALU_DEP_2)
	v_div_fmas_f32 v10, v10, v32, v19
	v_cmp_lt_f32_e32 vcc_lo, v6, v20
	v_div_fixup_f32 v8, v10, v27, v9
	v_dual_add_f32 v10, v11, v12 :: v_dual_mul_f32 v11, v17, v17
	v_cndmask_b32_e32 v6, v6, v20, vcc_lo
	v_mul_f32_e32 v20, v1, v1
	s_delay_alu instid0(VALU_DEP_3) | instskip(SKIP_2) | instid1(VALU_DEP_3)
	v_mul_f32_e32 v19, v17, v11
	v_mul_f32_e32 v12, v27, v11
	;; [unrolled: 1-line block ×5, first 2 shown]
	v_div_fixup_f32 v14, v14, v26, v16
	v_rcp_f32_e32 v16, v22
	s_delay_alu instid0(VALU_DEP_3) | instskip(NEXT) | instid1(VALU_DEP_2)
	v_mul_f32_e32 v25, v25, v29
	v_dual_mul_f32 v19, v27, v19 :: v_dual_add_f32 v2, v14, v2
	ds_bpermute_b32 v14, v5, v10
	v_dual_mul_f32 v19, v19, v29 :: v_dual_add_f32 v8, v8, v2
	v_fma_f32 v9, -v22, v16, 1.0
	v_div_scale_f32 v2, vcc_lo, v23, v1, v23
	s_delay_alu instid0(VALU_DEP_2) | instskip(SKIP_2) | instid1(VALU_DEP_1)
	v_fmac_f32_e32 v16, v9, v16
	ds_bpermute_b32 v9, v5, v3
	v_mul_f32_e32 v15, v2, v16
	v_fma_f32 v21, -v22, v15, v2
	s_delay_alu instid0(VALU_DEP_1) | instskip(NEXT) | instid1(VALU_DEP_1)
	v_fmac_f32_e32 v15, v21, v16
	v_fma_f32 v22, -v22, v15, v2
	s_waitcnt lgkmcnt(0)
	v_cmp_gt_f32_e64 s2, v3, v9
	s_delay_alu instid0(VALU_DEP_1) | instskip(NEXT) | instid1(VALU_DEP_3)
	v_cndmask_b32_e64 v2, v3, v9, s2
	v_div_fmas_f32 v9, v22, v16, v15
	v_mul_f32_e32 v15, v10, v29
	v_mul_f32_e32 v3, v30, v25
	;; [unrolled: 1-line block ×3, first 2 shown]
	v_mul_f32_e32 v17, 4.0, v17
	v_div_fixup_f32 v9, v9, v1, v23
	v_fma_f32 v15, v27, v14, -v15
	v_div_scale_f32 v22, null, v20, v20, v3
	s_delay_alu instid0(VALU_DEP_2) | instskip(SKIP_2) | instid1(VALU_DEP_4)
	v_mul_f32_e32 v15, v25, v15
	v_fma_f32 v25, -v27, v29, v26
	v_mul_f32_e32 v26, v26, v14
	v_rcp_f32_e32 v30, v22
	s_delay_alu instid0(VALU_DEP_3) | instskip(NEXT) | instid1(VALU_DEP_3)
	v_div_scale_f32 v32, null, v1, v1, v15
	v_fmac_f32_e32 v25, v29, v29
	s_delay_alu instid0(VALU_DEP_2) | instskip(NEXT) | instid1(VALU_DEP_1)
	v_rcp_f32_e32 v34, v32
	v_mul_f32_e32 v19, v25, v19
	v_mul_f32_e32 v25, v29, v29
	s_waitcnt_depctr 0xfff
	v_fma_f32 v33, -v22, v30, 1.0
	v_fmac_f32_e32 v26, v25, v10
	v_add_f32_e32 v4, v4, v13
	v_fma_f32 v35, -v32, v34, 1.0
	ds_bpermute_b32 v13, v5, v6
	v_div_scale_f32 v25, s2, v3, v20, v3
	v_mul_f32_e32 v11, v11, v26
	ds_bpermute_b32 v18, v5, v4
	v_fmac_f32_e32 v34, v35, v34
	v_div_scale_f32 v35, s3, v15, v1, v15
	v_mul_f32_e32 v12, v12, v29
	v_mul_f32_e32 v29, v4, v29
	s_waitcnt lgkmcnt(0)
	s_delay_alu instid0(VALU_DEP_1) | instskip(SKIP_2) | instid1(VALU_DEP_3)
	v_fma_f32 v27, v27, v18, -v29
	v_mul_f32_e32 v29, v35, v34
	v_div_scale_f32 v24, null, v1, v1, v12
	v_dual_add_f32 v4, v4, v18 :: v_dual_mul_f32 v17, v17, v27
	s_delay_alu instid0(VALU_DEP_2) | instskip(NEXT) | instid1(VALU_DEP_1)
	v_rcp_f32_e32 v21, v24
	v_div_scale_f32 v39, null, v1, v1, v17
	s_waitcnt_depctr 0xfff
	v_fma_f32 v16, -v24, v21, 1.0
	s_delay_alu instid0(VALU_DEP_1) | instskip(SKIP_1) | instid1(VALU_DEP_1)
	v_fmac_f32_e32 v21, v16, v21
	v_div_scale_f32 v16, vcc_lo, v12, v1, v12
	v_mul_f32_e32 v31, v16, v21
	s_delay_alu instid0(VALU_DEP_1) | instskip(NEXT) | instid1(VALU_DEP_1)
	v_fma_f32 v23, -v24, v31, v16
	v_fmac_f32_e32 v31, v23, v21
	ds_bpermute_b32 v5, v5, v8
	v_fmac_f32_e32 v30, v33, v30
	v_fma_f32 v16, -v24, v31, v16
	s_delay_alu instid0(VALU_DEP_1) | instskip(SKIP_1) | instid1(VALU_DEP_1)
	v_div_fmas_f32 v16, v16, v21, v31
	s_mov_b32 vcc_lo, s2
	v_div_fixup_f32 v12, v16, v1, v12
	s_waitcnt lgkmcnt(0)
	v_add_f32_e32 v5, v8, v5
	v_mul_f32_e32 v23, v25, v30
	v_add_f32_e32 v10, v10, v14
	s_delay_alu instid0(VALU_DEP_2) | instskip(NEXT) | instid1(VALU_DEP_1)
	v_fma_f32 v24, -v22, v23, v25
	v_fmac_f32_e32 v23, v24, v30
	v_fma_f32 v24, -v32, v29, v35
	v_mul_f32_e32 v28, v1, v20
	v_div_scale_f32 v26, null, v20, v20, v11
	v_div_scale_f32 v41, s5, v11, v20, v11
	s_delay_alu instid0(VALU_DEP_4) | instskip(NEXT) | instid1(VALU_DEP_4)
	v_fmac_f32_e32 v29, v24, v34
	v_div_scale_f32 v33, null, v28, v28, v19
	s_delay_alu instid0(VALU_DEP_4) | instskip(SKIP_1) | instid1(VALU_DEP_2)
	v_rcp_f32_e32 v38, v26
	v_div_scale_f32 v27, s4, v19, v28, v19
	v_rcp_f32_e32 v36, v33
	v_fma_f32 v21, -v22, v23, v25
	s_delay_alu instid0(VALU_DEP_1)
	v_div_fmas_f32 v21, v21, v30, v23
	v_fma_f32 v23, -v32, v29, v35
	s_mov_b32 vcc_lo, s3
	s_waitcnt_depctr 0xfff
	v_fma_f32 v37, -v33, v36, 1.0
	v_div_fixup_f32 v3, v21, v20, v3
	v_div_fmas_f32 v23, v23, v34, v29
	s_mov_b32 vcc_lo, s4
	s_delay_alu instid0(VALU_DEP_3) | instskip(SKIP_1) | instid1(VALU_DEP_3)
	v_fmac_f32_e32 v36, v37, v36
	v_fma_f32 v37, -v26, v38, 1.0
	v_div_fixup_f32 v15, v23, v1, v15
	s_delay_alu instid0(VALU_DEP_3) | instskip(NEXT) | instid1(VALU_DEP_3)
	v_mul_f32_e32 v40, v27, v36
	v_fmac_f32_e32 v38, v37, v38
	v_rcp_f32_e32 v37, v39
	s_delay_alu instid0(VALU_DEP_2) | instskip(NEXT) | instid1(VALU_DEP_2)
	v_fma_f32 v22, -v33, v40, v27
	v_mul_f32_e32 v24, v41, v38
	s_delay_alu instid0(VALU_DEP_2) | instskip(NEXT) | instid1(VALU_DEP_2)
	v_fmac_f32_e32 v40, v22, v36
	v_fma_f32 v22, -v26, v24, v41
	s_waitcnt_depctr 0xfff
	v_fma_f32 v25, -v39, v37, 1.0
	v_fma_f32 v27, -v33, v40, v27
	s_delay_alu instid0(VALU_DEP_2) | instskip(SKIP_1) | instid1(VALU_DEP_3)
	v_dual_fmac_f32 v24, v22, v38 :: v_dual_fmac_f32 v37, v25, v37
	v_div_scale_f32 v25, s2, v17, v1, v17
	v_div_fmas_f32 v22, v27, v36, v40
	s_delay_alu instid0(VALU_DEP_3) | instskip(SKIP_1) | instid1(VALU_DEP_3)
	v_fma_f32 v8, -v26, v24, v41
	s_mov_b32 vcc_lo, s5
	v_mul_f32_e32 v29, v25, v37
	s_delay_alu instid0(VALU_DEP_3) | instskip(NEXT) | instid1(VALU_DEP_3)
	v_div_fixup_f32 v14, v22, v28, v19
	v_div_fmas_f32 v8, v8, v38, v24
	s_mov_b32 vcc_lo, s2
	s_delay_alu instid0(VALU_DEP_3) | instskip(NEXT) | instid1(VALU_DEP_3)
	v_fma_f32 v27, -v39, v29, v25
	v_add_f32_e32 v5, v5, v14
	s_delay_alu instid0(VALU_DEP_3) | instskip(NEXT) | instid1(VALU_DEP_3)
	v_div_fixup_f32 v8, v8, v20, v11
	v_dual_add_f32 v14, v4, v3 :: v_dual_fmac_f32 v29, v27, v37
	v_dual_add_f32 v4, v7, v9 :: v_dual_add_f32 v9, v10, v12
	s_delay_alu instid0(VALU_DEP_2) | instskip(NEXT) | instid1(VALU_DEP_3)
	v_dual_add_f32 v5, v8, v5 :: v_dual_add_f32 v10, v15, v14
	v_fma_f32 v18, -v39, v29, v25
	s_delay_alu instid0(VALU_DEP_1) | instskip(SKIP_1) | instid1(VALU_DEP_2)
	v_div_fmas_f32 v11, v18, v37, v29
	v_cmp_lt_f32_e32 vcc_lo, v6, v13
	v_div_fixup_f32 v8, v11, v1, v17
	v_cndmask_b32_e32 v3, v6, v13, vcc_lo
	s_delay_alu instid0(VALU_DEP_2)
	v_add_f32_e32 v11, v8, v5
.LBB16_18:
	s_or_b32 exec_lo, exec_lo, s6
	s_branch .LBB16_87
.LBB16_19:
                                        ; implicit-def: $vgpr14
                                        ; implicit-def: $vgpr8
	s_branch .LBB16_100
.LBB16_20:
                                        ; implicit-def: $vgpr19
                                        ; implicit-def: $vgpr1
	s_cbranch_execz .LBB16_53
; %bb.21:
	s_sub_i32 s19, s22, s19
	s_mov_b32 s2, exec_lo
                                        ; implicit-def: $vgpr19
                                        ; implicit-def: $vgpr4
	v_cmpx_gt_u32_e64 s19, v0
; %bb.22:
	v_mad_u64_u32 v[5:6], null, v0, 28, s[24:25]
	s_clause 0x1
	global_load_b128 v[1:4], v[5:6], off
	global_load_b96 v[17:19], v[5:6], off offset:16
; %bb.23:
	s_or_b32 exec_lo, exec_lo, s2
	v_or_b32_e32 v5, 0x100, v0
                                        ; implicit-def: $vgpr28
                                        ; implicit-def: $vgpr16
	s_delay_alu instid0(VALU_DEP_1)
	v_cmp_gt_u32_e32 vcc_lo, s19, v5
	s_and_saveexec_b32 s2, vcc_lo
; %bb.24:
	v_mad_u64_u32 v[6:7], null, v5, 28, s[24:25]
	s_clause 0x1
	global_load_b128 v[13:16], v[6:7], off
	global_load_b96 v[26:28], v[6:7], off offset:16
; %bb.25:
	s_or_b32 exec_lo, exec_lo, s2
	v_or_b32_e32 v5, 0x200, v0
                                        ; implicit-def: $vgpr25
                                        ; implicit-def: $vgpr12
	s_delay_alu instid0(VALU_DEP_1) | instskip(NEXT) | instid1(VALU_DEP_1)
	v_cmp_gt_u32_e64 s3, s19, v5
	s_and_saveexec_b32 s2, s3
; %bb.26:
	v_mad_u64_u32 v[6:7], null, v5, 28, s[24:25]
	s_clause 0x1
	global_load_b128 v[9:12], v[6:7], off
	global_load_b96 v[23:25], v[6:7], off offset:16
; %bb.27:
	s_or_b32 exec_lo, exec_lo, s2
	v_or_b32_e32 v5, 0x300, v0
                                        ; implicit-def: $vgpr22
                                        ; implicit-def: $vgpr8
	s_delay_alu instid0(VALU_DEP_1) | instskip(NEXT) | instid1(VALU_DEP_1)
	v_cmp_gt_u32_e64 s2, s19, v5
	s_and_saveexec_b32 s4, s2
	s_cbranch_execnz .LBB16_132
; %bb.28:
	s_or_b32 exec_lo, exec_lo, s4
	s_and_saveexec_b32 s24, vcc_lo
	s_cbranch_execnz .LBB16_133
.LBB16_29:
	s_or_b32 exec_lo, exec_lo, s24
	s_and_saveexec_b32 s8, s3
	s_cbranch_execnz .LBB16_134
.LBB16_30:
	s_or_b32 exec_lo, exec_lo, s8
	s_and_saveexec_b32 s7, s2
	s_cbranch_execz .LBB16_32
.LBB16_31:
	s_waitcnt vmcnt(1)
	v_dual_sub_f32 v8, v8, v4 :: v_dual_add_f32 v9, v5, v1
	v_cmp_lt_f32_e32 vcc_lo, v6, v2
	s_waitcnt vmcnt(0)
	v_dual_add_f32 v10, v20, v17 :: v_dual_add_f32 v19, v22, v19
	s_delay_alu instid0(VALU_DEP_3) | instskip(SKIP_1) | instid1(VALU_DEP_2)
	v_dual_mul_f32 v12, v8, v8 :: v_dual_mul_f32 v15, v1, v1
	v_dual_cndmask_b32 v2, v2, v6 :: v_dual_sub_f32 v11, v1, v5
	v_dual_mul_f32 v6, v5, v8 :: v_dual_mul_f32 v23, v12, v1
	v_dual_mul_f32 v14, v5, v17 :: v_dual_mul_f32 v25, v8, v12
	v_mul_f32_e32 v27, 0x40400000, v8
	s_delay_alu instid0(VALU_DEP_3) | instskip(NEXT) | instid1(VALU_DEP_3)
	v_div_scale_f32 v13, null, v9, v9, v6
	v_fma_f32 v14, v20, v1, -v14
	v_div_scale_f32 v32, vcc_lo, v6, v9, v6
	s_delay_alu instid0(VALU_DEP_3) | instskip(SKIP_1) | instid1(VALU_DEP_3)
	v_rcp_f32_e32 v24, v13
	v_fma_f32 v29, -v5, v1, v15
	v_mul_f32_e32 v14, v27, v14
	v_dual_mul_f32 v16, v5, v5 :: v_dual_mul_f32 v15, v20, v15
	s_delay_alu instid0(VALU_DEP_3) | instskip(NEXT) | instid1(VALU_DEP_2)
	v_dual_mul_f32 v12, 0x40c00000, v12 :: v_dual_fmac_f32 v29, v5, v5
	v_fmac_f32_e32 v15, v16, v17
	s_waitcnt_depctr 0xfff
	v_fma_f32 v31, -v13, v24, 1.0
	s_delay_alu instid0(VALU_DEP_1) | instskip(NEXT) | instid1(VALU_DEP_1)
	v_dual_mul_f32 v23, v5, v23 :: v_dual_fmac_f32 v24, v31, v24
	v_div_scale_f32 v30, null, v9, v9, v23
	v_mul_f32_e32 v28, v1, v25
	v_mul_f32_e32 v25, v8, v25
	s_delay_alu instid0(VALU_DEP_4) | instskip(NEXT) | instid1(VALU_DEP_4)
	v_mul_f32_e32 v27, v32, v24
	v_rcp_f32_e32 v33, v30
	v_div_scale_f32 v36, s2, v23, v9, v23
	v_mul_f32_e32 v28, v5, v28
	v_mul_f32_e32 v26, v9, v9
	v_fma_f32 v34, -v13, v27, v32
	v_dual_mul_f32 v25, v1, v25 :: v_dual_mul_f32 v8, 4.0, v8
	s_delay_alu instid0(VALU_DEP_3) | instskip(NEXT) | instid1(VALU_DEP_3)
	v_dual_mul_f32 v11, v11, v28 :: v_dual_mul_f32 v20, v9, v26
	v_fmac_f32_e32 v27, v34, v24
	s_delay_alu instid0(TRANS32_DEP_1) | instskip(NEXT) | instid1(VALU_DEP_4)
	v_fma_f32 v31, -v30, v33, 1.0
	v_mul_f32_e32 v25, v5, v25
	s_delay_alu instid0(VALU_DEP_4) | instskip(NEXT) | instid1(VALU_DEP_4)
	v_div_scale_f32 v28, null, v26, v26, v11
	v_fma_f32 v13, -v13, v27, v32
	s_delay_alu instid0(VALU_DEP_4) | instskip(SKIP_1) | instid1(VALU_DEP_4)
	v_fmac_f32_e32 v33, v31, v33
	v_div_scale_f32 v31, null, v9, v9, v14
	v_rcp_f32_e32 v35, v28
	s_delay_alu instid0(VALU_DEP_3) | instskip(SKIP_1) | instid1(VALU_DEP_3)
	v_div_fmas_f32 v13, v13, v24, v27
	v_div_scale_f32 v16, s3, v11, v26, v11
	v_rcp_f32_e32 v24, v31
	s_mov_b32 vcc_lo, s2
	s_delay_alu instid0(VALU_DEP_2) | instskip(SKIP_4) | instid1(VALU_DEP_1)
	v_div_fixup_f32 v6, v13, v9, v6
	s_waitcnt_depctr 0xfff
	v_fma_f32 v34, -v28, v35, 1.0
	v_add_f32_e32 v4, v4, v6
	v_fma_f32 v17, -v31, v24, 1.0
	v_dual_fmac_f32 v35, v34, v35 :: v_dual_fmac_f32 v24, v17, v24
	v_mul_f32_e32 v12, v12, v15
	v_dual_mul_f32 v32, v36, v33 :: v_dual_mul_f32 v5, v5, v18
	s_delay_alu instid0(VALU_DEP_3) | instskip(NEXT) | instid1(VALU_DEP_3)
	v_dual_mul_f32 v15, v16, v35 :: v_dual_add_f32 v18, v21, v18
	v_div_scale_f32 v17, null, v26, v26, v12
	s_delay_alu instid0(VALU_DEP_3) | instskip(NEXT) | instid1(VALU_DEP_4)
	v_fma_f32 v27, -v30, v32, v36
	v_fma_f32 v1, v21, v1, -v5
	v_div_scale_f32 v40, s6, v12, v26, v12
	s_delay_alu instid0(VALU_DEP_4) | instskip(NEXT) | instid1(VALU_DEP_3)
	v_rcp_f32_e32 v37, v17
	v_fmac_f32_e32 v32, v27, v33
	v_div_scale_f32 v27, s4, v14, v9, v14
	v_mul_f32_e32 v25, v29, v25
	v_mul_f32_e32 v1, v8, v1
	s_delay_alu instid0(VALU_DEP_4) | instskip(NEXT) | instid1(VALU_DEP_4)
	v_fma_f32 v5, -v30, v32, v36
	v_mul_f32_e32 v36, v27, v24
	v_fma_f32 v30, -v28, v15, v16
	v_div_scale_f32 v13, null, v20, v20, v25
	v_div_scale_f32 v38, null, v9, v9, v1
	v_div_scale_f32 v8, s5, v25, v20, v25
	s_delay_alu instid0(VALU_DEP_3) | instskip(SKIP_2) | instid1(VALU_DEP_1)
	v_rcp_f32_e32 v29, v13
	v_div_fmas_f32 v5, v5, v33, v32
	s_mov_b32 vcc_lo, s3
	v_div_fixup_f32 v5, v5, v9, v23
	s_waitcnt_depctr 0xfff
	v_fma_f32 v34, -v13, v29, 1.0
	s_delay_alu instid0(VALU_DEP_1) | instskip(SKIP_1) | instid1(VALU_DEP_1)
	v_fmac_f32_e32 v29, v34, v29
	v_fma_f32 v34, -v17, v37, 1.0
	v_fmac_f32_e32 v37, v34, v37
	v_rcp_f32_e32 v34, v38
	v_fmac_f32_e32 v15, v30, v35
	v_fma_f32 v30, -v31, v36, v27
	s_delay_alu instid0(VALU_DEP_1) | instskip(SKIP_1) | instid1(VALU_DEP_4)
	v_fmac_f32_e32 v36, v30, v24
	v_mul_f32_e32 v30, v40, v37
	v_fma_f32 v16, -v28, v15, v16
	s_waitcnt_depctr 0xfff
	v_fma_f32 v32, -v38, v34, 1.0
	v_div_fmas_f32 v15, v16, v35, v15
	s_delay_alu instid0(VALU_DEP_2)
	v_fmac_f32_e32 v34, v32, v34
	v_mul_f32_e32 v39, v8, v29
	v_fma_f32 v16, -v31, v36, v27
	v_fma_f32 v27, -v17, v30, v40
	v_div_fixup_f32 v11, v15, v26, v11
	s_mov_b32 vcc_lo, s4
	v_fma_f32 v28, -v13, v39, v8
	v_div_fmas_f32 v16, v16, v24, v36
	v_fmac_f32_e32 v30, v27, v37
	s_mov_b32 vcc_lo, s5
	s_delay_alu instid0(VALU_DEP_3) | instskip(SKIP_1) | instid1(VALU_DEP_3)
	v_fmac_f32_e32 v39, v28, v29
	v_div_scale_f32 v28, s2, v1, v9, v1
	v_fma_f32 v17, -v17, v30, v40
	s_delay_alu instid0(VALU_DEP_3) | instskip(NEXT) | instid1(VALU_DEP_3)
	v_fma_f32 v8, -v13, v39, v8
	v_mul_f32_e32 v13, v28, v34
	s_delay_alu instid0(VALU_DEP_2) | instskip(NEXT) | instid1(VALU_DEP_2)
	v_div_fmas_f32 v8, v8, v29, v39
	v_fma_f32 v24, -v38, v13, v28
	s_mov_b32 vcc_lo, s6
	v_div_fmas_f32 v17, v17, v37, v30
	s_delay_alu instid0(VALU_DEP_3) | instskip(NEXT) | instid1(VALU_DEP_3)
	v_div_fixup_f32 v8, v8, v20, v25
	v_fmac_f32_e32 v13, v24, v34
	s_mov_b32 vcc_lo, s2
	s_delay_alu instid0(VALU_DEP_3) | instskip(SKIP_1) | instid1(VALU_DEP_3)
	v_div_fixup_f32 v12, v17, v26, v12
	v_add_f32_e32 v17, v10, v5
	v_fma_f32 v15, -v38, v13, v28
	v_add_f32_e32 v10, v18, v11
	v_div_fixup_f32 v11, v16, v9, v14
	s_delay_alu instid0(VALU_DEP_3) | instskip(SKIP_1) | instid1(VALU_DEP_3)
	v_div_fmas_f32 v13, v15, v34, v13
	v_cmp_lt_f32_e32 vcc_lo, v3, v7
	v_add_f32_e32 v18, v11, v10
	v_add_f32_e32 v8, v19, v8
	s_delay_alu instid0(VALU_DEP_4) | instskip(NEXT) | instid1(VALU_DEP_2)
	v_div_fixup_f32 v1, v13, v9, v1
	v_dual_cndmask_b32 v3, v3, v7 :: v_dual_add_f32 v8, v12, v8
	s_delay_alu instid0(VALU_DEP_1)
	v_add_f32_e32 v19, v1, v8
	v_mov_b32_e32 v1, v9
.LBB16_32:
	s_or_b32 exec_lo, exec_lo, s7
	s_waitcnt vmcnt(1)
	v_mbcnt_lo_u32_b32 v5, -1, 0
	s_min_u32 s7, s19, 0x100
	s_mov_b32 s2, exec_lo
	s_delay_alu instid0(VALU_DEP_1) | instskip(SKIP_2) | instid1(VALU_DEP_1)
	v_cmp_ne_u32_e32 vcc_lo, 31, v5
	v_add_nc_u32_e32 v14, 1, v5
	v_add_co_ci_u32_e32 v6, vcc_lo, 0, v5, vcc_lo
	v_lshlrev_b32_e32 v6, 2, v6
	ds_bpermute_b32 v10, v6, v1
	ds_bpermute_b32 v12, v6, v2
	ds_bpermute_b32 v7, v6, v3
	ds_bpermute_b32 v13, v6, v4
	s_waitcnt vmcnt(0)
	ds_bpermute_b32 v11, v6, v17
	ds_bpermute_b32 v8, v6, v18
	;; [unrolled: 1-line block ×3, first 2 shown]
	v_and_b32_e32 v6, 0xe0, v0
	s_delay_alu instid0(VALU_DEP_1) | instskip(NEXT) | instid1(VALU_DEP_1)
	v_sub_nc_u32_e64 v6, s7, v6 clamp
	v_cmpx_lt_u32_e64 v14, v6
	s_xor_b32 s8, exec_lo, s2
	s_cbranch_execz .LBB16_34
; %bb.33:
	s_waitcnt lgkmcnt(3)
	v_dual_sub_f32 v13, v13, v4 :: v_dual_mul_f32 v24, v10, v10
	v_add_f32_e32 v14, v1, v10
	v_cmp_gt_f32_e32 vcc_lo, v2, v12
	s_waitcnt lgkmcnt(2)
	v_add_f32_e32 v15, v17, v11
	v_mul_f32_e32 v29, 0x40400000, v13
	v_dual_mul_f32 v23, v1, v1 :: v_dual_mul_f32 v28, v14, v14
	v_cndmask_b32_e32 v2, v2, v12, vcc_lo
	v_mul_f32_e32 v12, v13, v10
	v_sub_f32_e32 v16, v1, v10
	s_delay_alu instid0(VALU_DEP_4) | instskip(NEXT) | instid1(VALU_DEP_1)
	v_fma_f32 v31, -v1, v10, v23
	v_fmac_f32_e32 v31, v10, v10
	v_mul_f32_e32 v22, v17, v10
	s_delay_alu instid0(VALU_DEP_1) | instskip(SKIP_4) | instid1(VALU_DEP_3)
	v_fma_f32 v22, v1, v11, -v22
	v_mul_f32_e32 v11, v23, v11
	v_div_scale_f32 v21, null, v14, v14, v12
	v_div_scale_f32 v34, vcc_lo, v12, v14, v12
	v_mul_f32_e32 v23, v14, v28
	v_rcp_f32_e32 v26, v21
	v_fmac_f32_e32 v11, v17, v24
	v_mul_f32_e32 v22, v29, v22
	s_waitcnt_depctr 0xfff
	v_fma_f32 v33, -v21, v26, 1.0
	s_delay_alu instid0(VALU_DEP_1) | instskip(NEXT) | instid1(VALU_DEP_1)
	v_fmac_f32_e32 v26, v33, v26
	v_dual_mul_f32 v20, v13, v13 :: v_dual_mul_f32 v29, v34, v26
	s_delay_alu instid0(VALU_DEP_1) | instskip(NEXT) | instid1(VALU_DEP_2)
	v_mul_f32_e32 v27, v13, v20
	v_fma_f32 v36, -v21, v29, v34
	s_delay_alu instid0(VALU_DEP_1) | instskip(NEXT) | instid1(VALU_DEP_1)
	v_dual_mul_f32 v30, v1, v27 :: v_dual_fmac_f32 v29, v36, v26
	v_dual_mul_f32 v25, v1, v20 :: v_dual_mul_f32 v30, v30, v10
	v_mul_f32_e32 v20, 0x40c00000, v20
	s_delay_alu instid0(VALU_DEP_3) | instskip(NEXT) | instid1(VALU_DEP_3)
	v_fma_f32 v21, -v21, v29, v34
	v_mul_f32_e32 v25, v25, v10
	s_delay_alu instid0(VALU_DEP_4) | instskip(NEXT) | instid1(VALU_DEP_4)
	v_mul_f32_e32 v16, v16, v30
	v_mul_f32_e32 v11, v20, v11
	s_delay_alu instid0(VALU_DEP_3) | instskip(NEXT) | instid1(VALU_DEP_3)
	v_div_scale_f32 v32, null, v14, v14, v25
	v_div_scale_f32 v30, null, v28, v28, v16
	v_div_scale_f32 v17, s3, v16, v28, v16
	s_delay_alu instid0(VALU_DEP_3) | instskip(NEXT) | instid1(VALU_DEP_2)
	v_rcp_f32_e32 v35, v32
	v_rcp_f32_e32 v37, v30
	v_div_scale_f32 v38, s2, v25, v14, v25
	v_div_scale_f32 v42, s6, v11, v28, v11
	s_waitcnt_depctr 0xfff
	v_fma_f32 v33, -v32, v35, 1.0
	v_fma_f32 v36, -v30, v37, 1.0
	s_delay_alu instid0(VALU_DEP_1) | instskip(SKIP_2) | instid1(VALU_DEP_2)
	v_fmac_f32_e32 v37, v36, v37
	v_div_fmas_f32 v21, v21, v26, v29
	s_mov_b32 vcc_lo, s2
	v_mul_f32_e32 v20, v17, v37
	v_fmac_f32_e32 v35, v33, v35
	v_div_scale_f32 v33, null, v14, v14, v22
	v_div_fixup_f32 v12, v21, v14, v12
	s_waitcnt lgkmcnt(0)
	s_delay_alu instid0(VALU_DEP_3) | instskip(NEXT) | instid1(VALU_DEP_3)
	v_dual_add_f32 v9, v19, v9 :: v_dual_mul_f32 v34, v38, v35
	v_rcp_f32_e32 v26, v33
	s_delay_alu instid0(VALU_DEP_2) | instskip(NEXT) | instid1(VALU_DEP_2)
	v_add_f32_e32 v4, v4, v12
	v_fma_f32 v29, -v32, v34, v38
	s_delay_alu instid0(VALU_DEP_1) | instskip(SKIP_4) | instid1(VALU_DEP_2)
	v_fmac_f32_e32 v34, v29, v35
	s_waitcnt_depctr 0xfff
	v_fma_f32 v24, -v33, v26, 1.0
	v_mul_f32_e32 v27, v13, v27
	v_div_scale_f32 v29, s4, v22, v14, v22
	v_dual_fmac_f32 v26, v24, v26 :: v_dual_mul_f32 v27, v1, v27
	v_div_scale_f32 v24, null, v28, v28, v11
	v_mul_f32_e32 v13, 4.0, v13
	s_delay_alu instid0(VALU_DEP_3) | instskip(NEXT) | instid1(VALU_DEP_3)
	v_mul_f32_e32 v27, v27, v10
	v_rcp_f32_e32 v39, v24
	s_delay_alu instid0(VALU_DEP_1) | instskip(NEXT) | instid1(VALU_DEP_1)
	v_dual_mul_f32 v10, v18, v10 :: v_dual_mul_f32 v27, v31, v27
	v_fma_f32 v1, v1, v8, -v10
	v_fma_f32 v10, -v32, v34, v38
	v_mul_f32_e32 v38, v29, v26
	s_delay_alu instid0(VALU_DEP_4) | instskip(SKIP_1) | instid1(VALU_DEP_2)
	v_div_scale_f32 v21, null, v23, v23, v27
	v_add_f32_e32 v8, v18, v8
	v_rcp_f32_e32 v31, v21
	s_waitcnt_depctr 0xfff
	v_fma_f32 v36, -v21, v31, 1.0
	s_delay_alu instid0(VALU_DEP_1) | instskip(SKIP_2) | instid1(VALU_DEP_2)
	v_fmac_f32_e32 v31, v36, v31
	v_fma_f32 v32, -v30, v20, v17
	v_fma_f32 v36, -v24, v39, 1.0
	v_fmac_f32_e32 v20, v32, v37
	v_fma_f32 v32, -v33, v38, v29
	s_delay_alu instid0(VALU_DEP_3) | instskip(SKIP_2) | instid1(VALU_DEP_4)
	v_fmac_f32_e32 v39, v36, v39
	v_mul_f32_e32 v1, v13, v1
	v_div_scale_f32 v13, s5, v27, v23, v27
	v_fmac_f32_e32 v38, v32, v26
	s_delay_alu instid0(VALU_DEP_4) | instskip(NEXT) | instid1(VALU_DEP_4)
	v_mul_f32_e32 v32, v42, v39
	v_div_scale_f32 v40, null, v14, v14, v1
	v_div_fmas_f32 v10, v10, v35, v34
	v_fma_f32 v17, -v30, v20, v17
	s_mov_b32 vcc_lo, s3
	s_delay_alu instid0(VALU_DEP_3) | instskip(NEXT) | instid1(VALU_DEP_2)
	v_rcp_f32_e32 v36, v40
	v_div_fixup_f32 v10, v10, v14, v25
	s_delay_alu instid0(VALU_DEP_2) | instskip(SKIP_3) | instid1(VALU_DEP_3)
	v_div_fmas_f32 v17, v17, v37, v20
	v_fma_f32 v20, -v33, v38, v29
	v_fma_f32 v29, -v24, v32, v42
	s_mov_b32 vcc_lo, s4
	v_div_fixup_f32 v16, v17, v28, v16
	s_delay_alu instid0(VALU_DEP_3) | instskip(NEXT) | instid1(TRANS32_DEP_1)
	v_div_fmas_f32 v20, v20, v26, v38
	v_fma_f32 v34, -v40, v36, 1.0
	v_mul_f32_e32 v41, v13, v31
	v_fmac_f32_e32 v32, v29, v39
	v_add_f32_e32 v8, v8, v16
	s_mov_b32 vcc_lo, s5
	v_fmac_f32_e32 v36, v34, v36
	v_fma_f32 v30, -v21, v41, v13
	v_fma_f32 v19, -v24, v32, v42
	s_delay_alu instid0(VALU_DEP_2) | instskip(SKIP_1) | instid1(VALU_DEP_2)
	v_fmac_f32_e32 v41, v30, v31
	v_div_scale_f32 v30, s2, v1, v14, v1
	v_fma_f32 v13, -v21, v41, v13
	s_delay_alu instid0(VALU_DEP_2) | instskip(NEXT) | instid1(VALU_DEP_2)
	v_mul_f32_e32 v21, v30, v36
	v_div_fmas_f32 v13, v13, v31, v41
	s_delay_alu instid0(VALU_DEP_2) | instskip(SKIP_2) | instid1(VALU_DEP_3)
	v_fma_f32 v26, -v40, v21, v30
	s_mov_b32 vcc_lo, s6
	v_div_fmas_f32 v19, v19, v39, v32
	v_div_fixup_f32 v13, v13, v23, v27
	s_delay_alu instid0(VALU_DEP_3) | instskip(SKIP_1) | instid1(VALU_DEP_3)
	v_fmac_f32_e32 v21, v26, v36
	s_mov_b32 vcc_lo, s2
	v_div_fixup_f32 v11, v19, v28, v11
	s_delay_alu instid0(VALU_DEP_3) | instskip(NEXT) | instid1(VALU_DEP_3)
	v_add_f32_e32 v9, v9, v13
	v_fma_f32 v17, -v40, v21, v30
	s_delay_alu instid0(VALU_DEP_1) | instskip(SKIP_3) | instid1(VALU_DEP_4)
	v_div_fmas_f32 v13, v17, v36, v21
	v_add_f32_e32 v17, v15, v10
	v_div_fixup_f32 v15, v20, v14, v22
	v_cmp_lt_f32_e32 vcc_lo, v3, v7
	v_div_fixup_f32 v1, v13, v14, v1
	s_delay_alu instid0(VALU_DEP_3) | instskip(SKIP_2) | instid1(VALU_DEP_2)
	v_add_f32_e32 v18, v15, v8
	v_add_f32_e32 v9, v11, v9
	v_cndmask_b32_e32 v3, v3, v7, vcc_lo
	v_add_f32_e32 v19, v1, v9
	v_mov_b32_e32 v1, v14
.LBB16_34:
	s_or_b32 exec_lo, exec_lo, s8
	v_cmp_gt_u32_e32 vcc_lo, 30, v5
	v_add_nc_u32_e32 v14, 2, v5
	s_mov_b32 s8, exec_lo
	s_waitcnt lgkmcnt(4)
	v_cndmask_b32_e64 v7, 0, 1, vcc_lo
	s_delay_alu instid0(VALU_DEP_1) | instskip(SKIP_1) | instid1(VALU_DEP_1)
	v_lshlrev_b32_e32 v7, 1, v7
	s_waitcnt lgkmcnt(0)
	v_add_lshl_u32 v9, v7, v5, 2
	ds_bpermute_b32 v10, v9, v1
	ds_bpermute_b32 v12, v9, v2
	ds_bpermute_b32 v7, v9, v3
	ds_bpermute_b32 v13, v9, v4
	ds_bpermute_b32 v11, v9, v17
	ds_bpermute_b32 v8, v9, v18
	ds_bpermute_b32 v9, v9, v19
	v_cmpx_lt_u32_e64 v14, v6
	s_cbranch_execz .LBB16_36
; %bb.35:
	s_waitcnt lgkmcnt(3)
	v_dual_sub_f32 v13, v13, v4 :: v_dual_mul_f32 v24, v10, v10
	v_add_f32_e32 v14, v1, v10
	v_cmp_gt_f32_e32 vcc_lo, v2, v12
	s_waitcnt lgkmcnt(2)
	v_add_f32_e32 v15, v17, v11
	v_mul_f32_e32 v29, 0x40400000, v13
	v_dual_mul_f32 v23, v1, v1 :: v_dual_mul_f32 v28, v14, v14
	v_cndmask_b32_e32 v2, v2, v12, vcc_lo
	v_mul_f32_e32 v12, v13, v10
	v_sub_f32_e32 v16, v1, v10
	s_delay_alu instid0(VALU_DEP_4) | instskip(NEXT) | instid1(VALU_DEP_1)
	v_fma_f32 v31, -v1, v10, v23
	v_fmac_f32_e32 v31, v10, v10
	v_mul_f32_e32 v22, v17, v10
	s_delay_alu instid0(VALU_DEP_1) | instskip(SKIP_4) | instid1(VALU_DEP_3)
	v_fma_f32 v22, v1, v11, -v22
	v_mul_f32_e32 v11, v23, v11
	v_div_scale_f32 v21, null, v14, v14, v12
	v_div_scale_f32 v34, vcc_lo, v12, v14, v12
	v_mul_f32_e32 v23, v14, v28
	v_rcp_f32_e32 v26, v21
	v_fmac_f32_e32 v11, v17, v24
	v_mul_f32_e32 v22, v29, v22
	s_waitcnt_depctr 0xfff
	v_fma_f32 v33, -v21, v26, 1.0
	s_delay_alu instid0(VALU_DEP_1) | instskip(NEXT) | instid1(VALU_DEP_1)
	v_fmac_f32_e32 v26, v33, v26
	v_dual_mul_f32 v20, v13, v13 :: v_dual_mul_f32 v29, v34, v26
	s_delay_alu instid0(VALU_DEP_1) | instskip(NEXT) | instid1(VALU_DEP_2)
	v_mul_f32_e32 v27, v13, v20
	v_fma_f32 v36, -v21, v29, v34
	s_delay_alu instid0(VALU_DEP_1) | instskip(NEXT) | instid1(VALU_DEP_1)
	v_dual_mul_f32 v30, v1, v27 :: v_dual_fmac_f32 v29, v36, v26
	v_dual_mul_f32 v25, v1, v20 :: v_dual_mul_f32 v30, v30, v10
	v_mul_f32_e32 v20, 0x40c00000, v20
	s_delay_alu instid0(VALU_DEP_3) | instskip(NEXT) | instid1(VALU_DEP_3)
	v_fma_f32 v21, -v21, v29, v34
	v_mul_f32_e32 v25, v25, v10
	s_delay_alu instid0(VALU_DEP_4) | instskip(NEXT) | instid1(VALU_DEP_4)
	v_mul_f32_e32 v16, v16, v30
	v_mul_f32_e32 v11, v20, v11
	s_delay_alu instid0(VALU_DEP_3) | instskip(NEXT) | instid1(VALU_DEP_3)
	v_div_scale_f32 v32, null, v14, v14, v25
	v_div_scale_f32 v30, null, v28, v28, v16
	v_div_scale_f32 v17, s3, v16, v28, v16
	s_delay_alu instid0(VALU_DEP_3) | instskip(NEXT) | instid1(VALU_DEP_2)
	v_rcp_f32_e32 v35, v32
	v_rcp_f32_e32 v37, v30
	v_div_scale_f32 v38, s2, v25, v14, v25
	v_div_scale_f32 v42, s6, v11, v28, v11
	s_waitcnt_depctr 0xfff
	v_fma_f32 v33, -v32, v35, 1.0
	v_fma_f32 v36, -v30, v37, 1.0
	s_delay_alu instid0(VALU_DEP_1) | instskip(SKIP_2) | instid1(VALU_DEP_2)
	v_fmac_f32_e32 v37, v36, v37
	v_div_fmas_f32 v21, v21, v26, v29
	s_mov_b32 vcc_lo, s2
	v_mul_f32_e32 v20, v17, v37
	v_fmac_f32_e32 v35, v33, v35
	v_div_scale_f32 v33, null, v14, v14, v22
	v_div_fixup_f32 v12, v21, v14, v12
	s_waitcnt lgkmcnt(0)
	s_delay_alu instid0(VALU_DEP_3) | instskip(NEXT) | instid1(VALU_DEP_3)
	v_dual_add_f32 v9, v19, v9 :: v_dual_mul_f32 v34, v38, v35
	v_rcp_f32_e32 v26, v33
	s_delay_alu instid0(VALU_DEP_2) | instskip(NEXT) | instid1(VALU_DEP_2)
	v_add_f32_e32 v4, v4, v12
	v_fma_f32 v29, -v32, v34, v38
	s_delay_alu instid0(VALU_DEP_1) | instskip(SKIP_4) | instid1(VALU_DEP_2)
	v_fmac_f32_e32 v34, v29, v35
	s_waitcnt_depctr 0xfff
	v_fma_f32 v24, -v33, v26, 1.0
	v_mul_f32_e32 v27, v13, v27
	v_div_scale_f32 v29, s4, v22, v14, v22
	v_dual_fmac_f32 v26, v24, v26 :: v_dual_mul_f32 v27, v1, v27
	v_div_scale_f32 v24, null, v28, v28, v11
	v_mul_f32_e32 v13, 4.0, v13
	s_delay_alu instid0(VALU_DEP_3) | instskip(NEXT) | instid1(VALU_DEP_3)
	v_mul_f32_e32 v27, v27, v10
	v_rcp_f32_e32 v39, v24
	s_delay_alu instid0(VALU_DEP_1) | instskip(NEXT) | instid1(VALU_DEP_1)
	v_dual_mul_f32 v10, v18, v10 :: v_dual_mul_f32 v27, v31, v27
	v_fma_f32 v1, v1, v8, -v10
	v_fma_f32 v10, -v32, v34, v38
	v_mul_f32_e32 v38, v29, v26
	s_delay_alu instid0(VALU_DEP_4) | instskip(SKIP_1) | instid1(VALU_DEP_2)
	v_div_scale_f32 v21, null, v23, v23, v27
	v_add_f32_e32 v8, v18, v8
	v_rcp_f32_e32 v31, v21
	s_waitcnt_depctr 0xfff
	v_fma_f32 v36, -v21, v31, 1.0
	s_delay_alu instid0(VALU_DEP_1) | instskip(SKIP_2) | instid1(VALU_DEP_2)
	v_fmac_f32_e32 v31, v36, v31
	v_fma_f32 v32, -v30, v20, v17
	v_fma_f32 v36, -v24, v39, 1.0
	v_fmac_f32_e32 v20, v32, v37
	v_fma_f32 v32, -v33, v38, v29
	s_delay_alu instid0(VALU_DEP_3) | instskip(SKIP_2) | instid1(VALU_DEP_4)
	v_fmac_f32_e32 v39, v36, v39
	v_mul_f32_e32 v1, v13, v1
	v_div_scale_f32 v13, s5, v27, v23, v27
	v_fmac_f32_e32 v38, v32, v26
	s_delay_alu instid0(VALU_DEP_4) | instskip(NEXT) | instid1(VALU_DEP_4)
	v_mul_f32_e32 v32, v42, v39
	v_div_scale_f32 v40, null, v14, v14, v1
	v_div_fmas_f32 v10, v10, v35, v34
	v_fma_f32 v17, -v30, v20, v17
	s_mov_b32 vcc_lo, s3
	s_delay_alu instid0(VALU_DEP_3) | instskip(NEXT) | instid1(VALU_DEP_2)
	v_rcp_f32_e32 v36, v40
	v_div_fixup_f32 v10, v10, v14, v25
	s_delay_alu instid0(VALU_DEP_2) | instskip(SKIP_3) | instid1(VALU_DEP_3)
	v_div_fmas_f32 v17, v17, v37, v20
	v_fma_f32 v20, -v33, v38, v29
	v_fma_f32 v29, -v24, v32, v42
	s_mov_b32 vcc_lo, s4
	v_div_fixup_f32 v16, v17, v28, v16
	s_delay_alu instid0(VALU_DEP_3) | instskip(NEXT) | instid1(TRANS32_DEP_1)
	v_div_fmas_f32 v20, v20, v26, v38
	v_fma_f32 v34, -v40, v36, 1.0
	v_mul_f32_e32 v41, v13, v31
	v_fmac_f32_e32 v32, v29, v39
	v_add_f32_e32 v8, v8, v16
	s_mov_b32 vcc_lo, s5
	v_fmac_f32_e32 v36, v34, v36
	v_fma_f32 v30, -v21, v41, v13
	v_fma_f32 v19, -v24, v32, v42
	s_delay_alu instid0(VALU_DEP_2) | instskip(SKIP_1) | instid1(VALU_DEP_2)
	v_fmac_f32_e32 v41, v30, v31
	v_div_scale_f32 v30, s2, v1, v14, v1
	v_fma_f32 v13, -v21, v41, v13
	s_delay_alu instid0(VALU_DEP_2) | instskip(NEXT) | instid1(VALU_DEP_2)
	v_mul_f32_e32 v21, v30, v36
	v_div_fmas_f32 v13, v13, v31, v41
	s_delay_alu instid0(VALU_DEP_2) | instskip(SKIP_2) | instid1(VALU_DEP_3)
	v_fma_f32 v26, -v40, v21, v30
	s_mov_b32 vcc_lo, s6
	v_div_fmas_f32 v19, v19, v39, v32
	v_div_fixup_f32 v13, v13, v23, v27
	s_delay_alu instid0(VALU_DEP_3) | instskip(SKIP_1) | instid1(VALU_DEP_3)
	v_fmac_f32_e32 v21, v26, v36
	s_mov_b32 vcc_lo, s2
	v_div_fixup_f32 v11, v19, v28, v11
	s_delay_alu instid0(VALU_DEP_3) | instskip(NEXT) | instid1(VALU_DEP_3)
	v_add_f32_e32 v9, v9, v13
	v_fma_f32 v17, -v40, v21, v30
	s_delay_alu instid0(VALU_DEP_1) | instskip(SKIP_3) | instid1(VALU_DEP_4)
	v_div_fmas_f32 v13, v17, v36, v21
	v_add_f32_e32 v17, v15, v10
	v_div_fixup_f32 v15, v20, v14, v22
	v_cmp_lt_f32_e32 vcc_lo, v3, v7
	v_div_fixup_f32 v1, v13, v14, v1
	s_delay_alu instid0(VALU_DEP_3) | instskip(SKIP_2) | instid1(VALU_DEP_2)
	v_add_f32_e32 v18, v15, v8
	v_add_f32_e32 v9, v11, v9
	v_cndmask_b32_e32 v3, v3, v7, vcc_lo
	v_add_f32_e32 v19, v1, v9
	v_mov_b32_e32 v1, v14
.LBB16_36:
	s_or_b32 exec_lo, exec_lo, s8
	v_cmp_gt_u32_e32 vcc_lo, 28, v5
	v_add_nc_u32_e32 v14, 4, v5
	s_mov_b32 s8, exec_lo
	s_waitcnt lgkmcnt(4)
	v_cndmask_b32_e64 v7, 0, 1, vcc_lo
	s_delay_alu instid0(VALU_DEP_1) | instskip(SKIP_1) | instid1(VALU_DEP_1)
	v_lshlrev_b32_e32 v7, 2, v7
	s_waitcnt lgkmcnt(0)
	v_add_lshl_u32 v9, v7, v5, 2
	ds_bpermute_b32 v10, v9, v1
	ds_bpermute_b32 v12, v9, v2
	;; [unrolled: 1-line block ×7, first 2 shown]
	v_cmpx_lt_u32_e64 v14, v6
	s_cbranch_execz .LBB16_38
; %bb.37:
	s_waitcnt lgkmcnt(3)
	v_dual_sub_f32 v13, v13, v4 :: v_dual_mul_f32 v24, v10, v10
	v_add_f32_e32 v14, v1, v10
	v_cmp_gt_f32_e32 vcc_lo, v2, v12
	s_waitcnt lgkmcnt(2)
	v_add_f32_e32 v15, v17, v11
	v_mul_f32_e32 v29, 0x40400000, v13
	v_dual_mul_f32 v23, v1, v1 :: v_dual_mul_f32 v28, v14, v14
	v_cndmask_b32_e32 v2, v2, v12, vcc_lo
	v_mul_f32_e32 v12, v13, v10
	v_sub_f32_e32 v16, v1, v10
	s_delay_alu instid0(VALU_DEP_4) | instskip(NEXT) | instid1(VALU_DEP_1)
	v_fma_f32 v31, -v1, v10, v23
	v_fmac_f32_e32 v31, v10, v10
	v_mul_f32_e32 v22, v17, v10
	s_delay_alu instid0(VALU_DEP_1) | instskip(SKIP_4) | instid1(VALU_DEP_3)
	v_fma_f32 v22, v1, v11, -v22
	v_mul_f32_e32 v11, v23, v11
	v_div_scale_f32 v21, null, v14, v14, v12
	v_div_scale_f32 v34, vcc_lo, v12, v14, v12
	v_mul_f32_e32 v23, v14, v28
	v_rcp_f32_e32 v26, v21
	v_fmac_f32_e32 v11, v17, v24
	v_mul_f32_e32 v22, v29, v22
	s_waitcnt_depctr 0xfff
	v_fma_f32 v33, -v21, v26, 1.0
	s_delay_alu instid0(VALU_DEP_1) | instskip(NEXT) | instid1(VALU_DEP_1)
	v_fmac_f32_e32 v26, v33, v26
	v_dual_mul_f32 v20, v13, v13 :: v_dual_mul_f32 v29, v34, v26
	s_delay_alu instid0(VALU_DEP_1) | instskip(NEXT) | instid1(VALU_DEP_2)
	v_mul_f32_e32 v27, v13, v20
	v_fma_f32 v36, -v21, v29, v34
	s_delay_alu instid0(VALU_DEP_1) | instskip(NEXT) | instid1(VALU_DEP_1)
	v_dual_mul_f32 v30, v1, v27 :: v_dual_fmac_f32 v29, v36, v26
	v_dual_mul_f32 v25, v1, v20 :: v_dual_mul_f32 v30, v30, v10
	v_mul_f32_e32 v20, 0x40c00000, v20
	s_delay_alu instid0(VALU_DEP_3) | instskip(NEXT) | instid1(VALU_DEP_3)
	v_fma_f32 v21, -v21, v29, v34
	v_mul_f32_e32 v25, v25, v10
	s_delay_alu instid0(VALU_DEP_4) | instskip(NEXT) | instid1(VALU_DEP_4)
	v_mul_f32_e32 v16, v16, v30
	v_mul_f32_e32 v11, v20, v11
	s_delay_alu instid0(VALU_DEP_3) | instskip(NEXT) | instid1(VALU_DEP_3)
	v_div_scale_f32 v32, null, v14, v14, v25
	v_div_scale_f32 v30, null, v28, v28, v16
	v_div_scale_f32 v17, s3, v16, v28, v16
	s_delay_alu instid0(VALU_DEP_3) | instskip(NEXT) | instid1(VALU_DEP_2)
	v_rcp_f32_e32 v35, v32
	v_rcp_f32_e32 v37, v30
	v_div_scale_f32 v38, s2, v25, v14, v25
	v_div_scale_f32 v42, s6, v11, v28, v11
	s_waitcnt_depctr 0xfff
	v_fma_f32 v33, -v32, v35, 1.0
	v_fma_f32 v36, -v30, v37, 1.0
	s_delay_alu instid0(VALU_DEP_1) | instskip(SKIP_2) | instid1(VALU_DEP_2)
	v_fmac_f32_e32 v37, v36, v37
	v_div_fmas_f32 v21, v21, v26, v29
	s_mov_b32 vcc_lo, s2
	v_mul_f32_e32 v20, v17, v37
	v_fmac_f32_e32 v35, v33, v35
	v_div_scale_f32 v33, null, v14, v14, v22
	v_div_fixup_f32 v12, v21, v14, v12
	s_waitcnt lgkmcnt(0)
	s_delay_alu instid0(VALU_DEP_3) | instskip(NEXT) | instid1(VALU_DEP_3)
	v_dual_add_f32 v9, v19, v9 :: v_dual_mul_f32 v34, v38, v35
	v_rcp_f32_e32 v26, v33
	s_delay_alu instid0(VALU_DEP_2) | instskip(NEXT) | instid1(VALU_DEP_2)
	v_add_f32_e32 v4, v4, v12
	v_fma_f32 v29, -v32, v34, v38
	s_delay_alu instid0(VALU_DEP_1) | instskip(SKIP_4) | instid1(VALU_DEP_2)
	v_fmac_f32_e32 v34, v29, v35
	s_waitcnt_depctr 0xfff
	v_fma_f32 v24, -v33, v26, 1.0
	v_mul_f32_e32 v27, v13, v27
	v_div_scale_f32 v29, s4, v22, v14, v22
	v_dual_fmac_f32 v26, v24, v26 :: v_dual_mul_f32 v27, v1, v27
	v_div_scale_f32 v24, null, v28, v28, v11
	v_mul_f32_e32 v13, 4.0, v13
	s_delay_alu instid0(VALU_DEP_3) | instskip(NEXT) | instid1(VALU_DEP_3)
	v_mul_f32_e32 v27, v27, v10
	v_rcp_f32_e32 v39, v24
	s_delay_alu instid0(VALU_DEP_1) | instskip(NEXT) | instid1(VALU_DEP_1)
	v_dual_mul_f32 v10, v18, v10 :: v_dual_mul_f32 v27, v31, v27
	v_fma_f32 v1, v1, v8, -v10
	v_fma_f32 v10, -v32, v34, v38
	v_mul_f32_e32 v38, v29, v26
	s_delay_alu instid0(VALU_DEP_4) | instskip(SKIP_1) | instid1(VALU_DEP_2)
	v_div_scale_f32 v21, null, v23, v23, v27
	v_add_f32_e32 v8, v18, v8
	v_rcp_f32_e32 v31, v21
	s_waitcnt_depctr 0xfff
	v_fma_f32 v36, -v21, v31, 1.0
	s_delay_alu instid0(VALU_DEP_1) | instskip(SKIP_2) | instid1(VALU_DEP_2)
	v_fmac_f32_e32 v31, v36, v31
	v_fma_f32 v32, -v30, v20, v17
	v_fma_f32 v36, -v24, v39, 1.0
	v_fmac_f32_e32 v20, v32, v37
	v_fma_f32 v32, -v33, v38, v29
	s_delay_alu instid0(VALU_DEP_3) | instskip(SKIP_2) | instid1(VALU_DEP_4)
	v_fmac_f32_e32 v39, v36, v39
	v_mul_f32_e32 v1, v13, v1
	v_div_scale_f32 v13, s5, v27, v23, v27
	v_fmac_f32_e32 v38, v32, v26
	s_delay_alu instid0(VALU_DEP_4) | instskip(NEXT) | instid1(VALU_DEP_4)
	v_mul_f32_e32 v32, v42, v39
	v_div_scale_f32 v40, null, v14, v14, v1
	v_div_fmas_f32 v10, v10, v35, v34
	v_fma_f32 v17, -v30, v20, v17
	s_mov_b32 vcc_lo, s3
	s_delay_alu instid0(VALU_DEP_3) | instskip(NEXT) | instid1(VALU_DEP_2)
	v_rcp_f32_e32 v36, v40
	v_div_fixup_f32 v10, v10, v14, v25
	s_delay_alu instid0(VALU_DEP_2) | instskip(SKIP_3) | instid1(VALU_DEP_3)
	v_div_fmas_f32 v17, v17, v37, v20
	v_fma_f32 v20, -v33, v38, v29
	v_fma_f32 v29, -v24, v32, v42
	s_mov_b32 vcc_lo, s4
	v_div_fixup_f32 v16, v17, v28, v16
	s_delay_alu instid0(VALU_DEP_3) | instskip(NEXT) | instid1(TRANS32_DEP_1)
	v_div_fmas_f32 v20, v20, v26, v38
	v_fma_f32 v34, -v40, v36, 1.0
	v_mul_f32_e32 v41, v13, v31
	v_fmac_f32_e32 v32, v29, v39
	v_add_f32_e32 v8, v8, v16
	s_mov_b32 vcc_lo, s5
	v_fmac_f32_e32 v36, v34, v36
	v_fma_f32 v30, -v21, v41, v13
	v_fma_f32 v19, -v24, v32, v42
	s_delay_alu instid0(VALU_DEP_2) | instskip(SKIP_1) | instid1(VALU_DEP_2)
	v_fmac_f32_e32 v41, v30, v31
	v_div_scale_f32 v30, s2, v1, v14, v1
	v_fma_f32 v13, -v21, v41, v13
	s_delay_alu instid0(VALU_DEP_2) | instskip(NEXT) | instid1(VALU_DEP_2)
	v_mul_f32_e32 v21, v30, v36
	v_div_fmas_f32 v13, v13, v31, v41
	s_delay_alu instid0(VALU_DEP_2) | instskip(SKIP_2) | instid1(VALU_DEP_3)
	v_fma_f32 v26, -v40, v21, v30
	s_mov_b32 vcc_lo, s6
	v_div_fmas_f32 v19, v19, v39, v32
	v_div_fixup_f32 v13, v13, v23, v27
	s_delay_alu instid0(VALU_DEP_3) | instskip(SKIP_1) | instid1(VALU_DEP_3)
	v_fmac_f32_e32 v21, v26, v36
	s_mov_b32 vcc_lo, s2
	v_div_fixup_f32 v11, v19, v28, v11
	s_delay_alu instid0(VALU_DEP_3) | instskip(NEXT) | instid1(VALU_DEP_3)
	v_add_f32_e32 v9, v9, v13
	v_fma_f32 v17, -v40, v21, v30
	s_delay_alu instid0(VALU_DEP_1) | instskip(SKIP_3) | instid1(VALU_DEP_4)
	v_div_fmas_f32 v13, v17, v36, v21
	v_add_f32_e32 v17, v15, v10
	v_div_fixup_f32 v15, v20, v14, v22
	v_cmp_lt_f32_e32 vcc_lo, v3, v7
	v_div_fixup_f32 v1, v13, v14, v1
	s_delay_alu instid0(VALU_DEP_3) | instskip(SKIP_2) | instid1(VALU_DEP_2)
	v_add_f32_e32 v18, v15, v8
	v_add_f32_e32 v9, v11, v9
	v_cndmask_b32_e32 v3, v3, v7, vcc_lo
	v_add_f32_e32 v19, v1, v9
	v_mov_b32_e32 v1, v14
.LBB16_38:
	s_or_b32 exec_lo, exec_lo, s8
	v_cmp_gt_u32_e32 vcc_lo, 24, v5
	v_add_nc_u32_e32 v14, 8, v5
	s_mov_b32 s8, exec_lo
	s_waitcnt lgkmcnt(4)
	v_cndmask_b32_e64 v7, 0, 1, vcc_lo
	s_delay_alu instid0(VALU_DEP_1) | instskip(SKIP_1) | instid1(VALU_DEP_1)
	v_lshlrev_b32_e32 v7, 3, v7
	s_waitcnt lgkmcnt(0)
	v_add_lshl_u32 v9, v7, v5, 2
	ds_bpermute_b32 v10, v9, v1
	ds_bpermute_b32 v12, v9, v2
	;; [unrolled: 1-line block ×7, first 2 shown]
	v_cmpx_lt_u32_e64 v14, v6
	s_cbranch_execz .LBB16_40
; %bb.39:
	s_waitcnt lgkmcnt(3)
	v_dual_sub_f32 v13, v13, v4 :: v_dual_mul_f32 v24, v10, v10
	v_add_f32_e32 v14, v1, v10
	v_cmp_gt_f32_e32 vcc_lo, v2, v12
	s_waitcnt lgkmcnt(2)
	v_add_f32_e32 v15, v17, v11
	v_mul_f32_e32 v29, 0x40400000, v13
	v_dual_mul_f32 v23, v1, v1 :: v_dual_mul_f32 v28, v14, v14
	v_cndmask_b32_e32 v2, v2, v12, vcc_lo
	v_mul_f32_e32 v12, v13, v10
	v_sub_f32_e32 v16, v1, v10
	s_delay_alu instid0(VALU_DEP_4) | instskip(NEXT) | instid1(VALU_DEP_1)
	v_fma_f32 v31, -v1, v10, v23
	v_fmac_f32_e32 v31, v10, v10
	v_mul_f32_e32 v22, v17, v10
	s_delay_alu instid0(VALU_DEP_1) | instskip(SKIP_4) | instid1(VALU_DEP_3)
	v_fma_f32 v22, v1, v11, -v22
	v_mul_f32_e32 v11, v23, v11
	v_div_scale_f32 v21, null, v14, v14, v12
	v_div_scale_f32 v34, vcc_lo, v12, v14, v12
	v_mul_f32_e32 v23, v14, v28
	v_rcp_f32_e32 v26, v21
	v_fmac_f32_e32 v11, v17, v24
	v_mul_f32_e32 v22, v29, v22
	s_waitcnt_depctr 0xfff
	v_fma_f32 v33, -v21, v26, 1.0
	s_delay_alu instid0(VALU_DEP_1) | instskip(NEXT) | instid1(VALU_DEP_1)
	v_fmac_f32_e32 v26, v33, v26
	v_dual_mul_f32 v20, v13, v13 :: v_dual_mul_f32 v29, v34, v26
	s_delay_alu instid0(VALU_DEP_1) | instskip(NEXT) | instid1(VALU_DEP_2)
	v_mul_f32_e32 v27, v13, v20
	v_fma_f32 v36, -v21, v29, v34
	s_delay_alu instid0(VALU_DEP_1) | instskip(NEXT) | instid1(VALU_DEP_1)
	v_dual_mul_f32 v30, v1, v27 :: v_dual_fmac_f32 v29, v36, v26
	v_dual_mul_f32 v25, v1, v20 :: v_dual_mul_f32 v30, v30, v10
	v_mul_f32_e32 v20, 0x40c00000, v20
	s_delay_alu instid0(VALU_DEP_3) | instskip(NEXT) | instid1(VALU_DEP_3)
	v_fma_f32 v21, -v21, v29, v34
	v_mul_f32_e32 v25, v25, v10
	s_delay_alu instid0(VALU_DEP_4) | instskip(NEXT) | instid1(VALU_DEP_4)
	v_mul_f32_e32 v16, v16, v30
	v_mul_f32_e32 v11, v20, v11
	s_delay_alu instid0(VALU_DEP_3) | instskip(NEXT) | instid1(VALU_DEP_3)
	v_div_scale_f32 v32, null, v14, v14, v25
	v_div_scale_f32 v30, null, v28, v28, v16
	v_div_scale_f32 v17, s3, v16, v28, v16
	s_delay_alu instid0(VALU_DEP_3) | instskip(NEXT) | instid1(VALU_DEP_2)
	v_rcp_f32_e32 v35, v32
	v_rcp_f32_e32 v37, v30
	v_div_scale_f32 v38, s2, v25, v14, v25
	v_div_scale_f32 v42, s6, v11, v28, v11
	s_waitcnt_depctr 0xfff
	v_fma_f32 v33, -v32, v35, 1.0
	v_fma_f32 v36, -v30, v37, 1.0
	s_delay_alu instid0(VALU_DEP_1) | instskip(SKIP_2) | instid1(VALU_DEP_2)
	v_fmac_f32_e32 v37, v36, v37
	v_div_fmas_f32 v21, v21, v26, v29
	s_mov_b32 vcc_lo, s2
	v_mul_f32_e32 v20, v17, v37
	v_fmac_f32_e32 v35, v33, v35
	v_div_scale_f32 v33, null, v14, v14, v22
	v_div_fixup_f32 v12, v21, v14, v12
	s_waitcnt lgkmcnt(0)
	s_delay_alu instid0(VALU_DEP_3) | instskip(NEXT) | instid1(VALU_DEP_3)
	v_dual_add_f32 v9, v19, v9 :: v_dual_mul_f32 v34, v38, v35
	v_rcp_f32_e32 v26, v33
	s_delay_alu instid0(VALU_DEP_2) | instskip(NEXT) | instid1(VALU_DEP_2)
	v_add_f32_e32 v4, v4, v12
	v_fma_f32 v29, -v32, v34, v38
	s_delay_alu instid0(VALU_DEP_1) | instskip(SKIP_4) | instid1(VALU_DEP_2)
	v_fmac_f32_e32 v34, v29, v35
	s_waitcnt_depctr 0xfff
	v_fma_f32 v24, -v33, v26, 1.0
	v_mul_f32_e32 v27, v13, v27
	v_div_scale_f32 v29, s4, v22, v14, v22
	v_dual_fmac_f32 v26, v24, v26 :: v_dual_mul_f32 v27, v1, v27
	v_div_scale_f32 v24, null, v28, v28, v11
	v_mul_f32_e32 v13, 4.0, v13
	s_delay_alu instid0(VALU_DEP_3) | instskip(NEXT) | instid1(VALU_DEP_3)
	v_mul_f32_e32 v27, v27, v10
	v_rcp_f32_e32 v39, v24
	s_delay_alu instid0(VALU_DEP_1) | instskip(NEXT) | instid1(VALU_DEP_1)
	v_dual_mul_f32 v10, v18, v10 :: v_dual_mul_f32 v27, v31, v27
	v_fma_f32 v1, v1, v8, -v10
	v_fma_f32 v10, -v32, v34, v38
	v_mul_f32_e32 v38, v29, v26
	s_delay_alu instid0(VALU_DEP_4) | instskip(SKIP_1) | instid1(VALU_DEP_2)
	v_div_scale_f32 v21, null, v23, v23, v27
	v_add_f32_e32 v8, v18, v8
	v_rcp_f32_e32 v31, v21
	s_waitcnt_depctr 0xfff
	v_fma_f32 v36, -v21, v31, 1.0
	s_delay_alu instid0(VALU_DEP_1) | instskip(SKIP_2) | instid1(VALU_DEP_2)
	v_fmac_f32_e32 v31, v36, v31
	v_fma_f32 v32, -v30, v20, v17
	v_fma_f32 v36, -v24, v39, 1.0
	v_fmac_f32_e32 v20, v32, v37
	v_fma_f32 v32, -v33, v38, v29
	s_delay_alu instid0(VALU_DEP_3) | instskip(SKIP_2) | instid1(VALU_DEP_4)
	v_fmac_f32_e32 v39, v36, v39
	v_mul_f32_e32 v1, v13, v1
	v_div_scale_f32 v13, s5, v27, v23, v27
	v_fmac_f32_e32 v38, v32, v26
	s_delay_alu instid0(VALU_DEP_4) | instskip(NEXT) | instid1(VALU_DEP_4)
	v_mul_f32_e32 v32, v42, v39
	v_div_scale_f32 v40, null, v14, v14, v1
	v_div_fmas_f32 v10, v10, v35, v34
	v_fma_f32 v17, -v30, v20, v17
	s_mov_b32 vcc_lo, s3
	s_delay_alu instid0(VALU_DEP_3) | instskip(NEXT) | instid1(VALU_DEP_2)
	v_rcp_f32_e32 v36, v40
	v_div_fixup_f32 v10, v10, v14, v25
	s_delay_alu instid0(VALU_DEP_2) | instskip(SKIP_3) | instid1(VALU_DEP_3)
	v_div_fmas_f32 v17, v17, v37, v20
	v_fma_f32 v20, -v33, v38, v29
	v_fma_f32 v29, -v24, v32, v42
	s_mov_b32 vcc_lo, s4
	v_div_fixup_f32 v16, v17, v28, v16
	s_delay_alu instid0(VALU_DEP_3) | instskip(NEXT) | instid1(TRANS32_DEP_1)
	v_div_fmas_f32 v20, v20, v26, v38
	v_fma_f32 v34, -v40, v36, 1.0
	v_mul_f32_e32 v41, v13, v31
	v_fmac_f32_e32 v32, v29, v39
	v_add_f32_e32 v8, v8, v16
	s_mov_b32 vcc_lo, s5
	v_fmac_f32_e32 v36, v34, v36
	v_fma_f32 v30, -v21, v41, v13
	v_fma_f32 v19, -v24, v32, v42
	s_delay_alu instid0(VALU_DEP_2) | instskip(SKIP_1) | instid1(VALU_DEP_2)
	v_fmac_f32_e32 v41, v30, v31
	v_div_scale_f32 v30, s2, v1, v14, v1
	v_fma_f32 v13, -v21, v41, v13
	s_delay_alu instid0(VALU_DEP_2) | instskip(NEXT) | instid1(VALU_DEP_2)
	v_mul_f32_e32 v21, v30, v36
	v_div_fmas_f32 v13, v13, v31, v41
	s_delay_alu instid0(VALU_DEP_2) | instskip(SKIP_2) | instid1(VALU_DEP_3)
	v_fma_f32 v26, -v40, v21, v30
	s_mov_b32 vcc_lo, s6
	v_div_fmas_f32 v19, v19, v39, v32
	v_div_fixup_f32 v13, v13, v23, v27
	s_delay_alu instid0(VALU_DEP_3) | instskip(SKIP_1) | instid1(VALU_DEP_3)
	v_fmac_f32_e32 v21, v26, v36
	s_mov_b32 vcc_lo, s2
	v_div_fixup_f32 v11, v19, v28, v11
	s_delay_alu instid0(VALU_DEP_3) | instskip(NEXT) | instid1(VALU_DEP_3)
	v_add_f32_e32 v9, v9, v13
	v_fma_f32 v17, -v40, v21, v30
	s_delay_alu instid0(VALU_DEP_1) | instskip(SKIP_3) | instid1(VALU_DEP_4)
	v_div_fmas_f32 v13, v17, v36, v21
	v_add_f32_e32 v17, v15, v10
	v_div_fixup_f32 v15, v20, v14, v22
	v_cmp_lt_f32_e32 vcc_lo, v3, v7
	v_div_fixup_f32 v1, v13, v14, v1
	s_delay_alu instid0(VALU_DEP_3) | instskip(SKIP_2) | instid1(VALU_DEP_2)
	v_add_f32_e32 v18, v15, v8
	v_add_f32_e32 v9, v11, v9
	v_cndmask_b32_e32 v3, v3, v7, vcc_lo
	v_add_f32_e32 v19, v1, v9
	v_mov_b32_e32 v1, v14
.LBB16_40:
	s_or_b32 exec_lo, exec_lo, s8
	v_cmp_gt_u32_e32 vcc_lo, 16, v5
	v_add_nc_u32_e32 v14, 16, v5
	s_mov_b32 s8, exec_lo
	s_waitcnt lgkmcnt(4)
	v_cndmask_b32_e64 v7, 0, 1, vcc_lo
	s_delay_alu instid0(VALU_DEP_1) | instskip(SKIP_1) | instid1(VALU_DEP_1)
	v_lshlrev_b32_e32 v7, 4, v7
	s_waitcnt lgkmcnt(0)
	v_add_lshl_u32 v9, v7, v5, 2
	ds_bpermute_b32 v10, v9, v1
	ds_bpermute_b32 v12, v9, v2
	;; [unrolled: 1-line block ×7, first 2 shown]
	v_cmpx_lt_u32_e64 v14, v6
	s_cbranch_execz .LBB16_42
; %bb.41:
	s_waitcnt lgkmcnt(3)
	v_dual_sub_f32 v6, v13, v4 :: v_dual_mul_f32 v23, v10, v10
	v_cmp_gt_f32_e32 vcc_lo, v2, v12
	v_add_f32_e32 v13, v1, v10
	s_waitcnt lgkmcnt(0)
	s_delay_alu instid0(VALU_DEP_3) | instskip(SKIP_1) | instid1(VALU_DEP_3)
	v_dual_add_f32 v9, v19, v9 :: v_dual_mul_f32 v16, v6, v6
	v_dual_sub_f32 v15, v1, v10 :: v_dual_cndmask_b32 v2, v2, v12
	v_dual_mul_f32 v12, v6, v10 :: v_dual_mul_f32 v27, v13, v13
	s_delay_alu instid0(VALU_DEP_3) | instskip(NEXT) | instid1(VALU_DEP_2)
	v_mul_f32_e32 v26, v6, v16
	v_div_scale_f32 v20, null, v13, v13, v12
	s_delay_alu instid0(VALU_DEP_2) | instskip(SKIP_1) | instid1(VALU_DEP_3)
	v_mul_f32_e32 v29, v1, v26
	v_div_scale_f32 v33, vcc_lo, v12, v13, v12
	v_rcp_f32_e32 v25, v20
	s_delay_alu instid0(VALU_DEP_2) | instskip(NEXT) | instid1(VALU_DEP_1)
	v_mul_f32_e32 v29, v29, v10
	v_dual_mul_f32 v15, v15, v29 :: v_dual_mul_f32 v24, v1, v16
	v_mul_f32_e32 v16, 0x40c00000, v16
	s_waitcnt_depctr 0xfff
	v_fma_f32 v32, -v20, v25, 1.0
	v_add_f32_e32 v14, v17, v11
	v_mul_f32_e32 v22, v1, v1
	v_div_scale_f32 v29, null, v27, v27, v15
	s_delay_alu instid0(VALU_DEP_4) | instskip(SKIP_1) | instid1(VALU_DEP_3)
	v_fmac_f32_e32 v25, v32, v25
	v_mul_f32_e32 v21, v17, v10
	v_rcp_f32_e32 v36, v29
	s_delay_alu instid0(VALU_DEP_1) | instskip(SKIP_1) | instid1(VALU_DEP_1)
	v_fma_f32 v21, v1, v11, -v21
	v_dual_mul_f32 v11, v22, v11 :: v_dual_mul_f32 v24, v24, v10
	v_dual_mul_f32 v28, 0x40400000, v6 :: v_dual_fmac_f32 v11, v17, v23
	s_delay_alu instid0(VALU_DEP_2) | instskip(NEXT) | instid1(VALU_DEP_2)
	v_div_scale_f32 v31, null, v13, v13, v24
	v_mul_f32_e32 v21, v28, v21
	s_delay_alu instid0(VALU_DEP_3) | instskip(SKIP_1) | instid1(VALU_DEP_4)
	v_dual_mul_f32 v28, v33, v25 :: v_dual_mul_f32 v11, v16, v11
	v_fma_f32 v30, -v1, v10, v22
	v_rcp_f32_e32 v34, v31
	v_mul_f32_e32 v22, v13, v27
	s_delay_alu instid0(VALU_DEP_3) | instskip(SKIP_2) | instid1(VALU_DEP_3)
	v_fma_f32 v35, -v20, v28, v33
	v_div_scale_f32 v17, s3, v15, v27, v15
	v_div_scale_f32 v41, s6, v11, v27, v11
	v_fmac_f32_e32 v28, v35, v25
	v_fma_f32 v35, -v29, v36, 1.0
	s_delay_alu instid0(TRANS32_DEP_1) | instskip(NEXT) | instid1(VALU_DEP_3)
	v_fma_f32 v32, -v31, v34, 1.0
	v_fma_f32 v20, -v20, v28, v33
	s_delay_alu instid0(VALU_DEP_3) | instskip(NEXT) | instid1(VALU_DEP_3)
	v_fmac_f32_e32 v36, v35, v36
	v_fmac_f32_e32 v34, v32, v34
	v_div_scale_f32 v32, null, v13, v13, v21
	s_delay_alu instid0(VALU_DEP_4) | instskip(NEXT) | instid1(VALU_DEP_4)
	v_div_fmas_f32 v20, v20, v25, v28
	v_mul_f32_e32 v16, v17, v36
	s_delay_alu instid0(VALU_DEP_3) | instskip(NEXT) | instid1(VALU_DEP_2)
	v_rcp_f32_e32 v25, v32
	v_div_fixup_f32 v12, v20, v13, v12
	s_delay_alu instid0(VALU_DEP_1) | instskip(SKIP_2) | instid1(VALU_DEP_1)
	v_add_f32_e32 v4, v4, v12
	s_waitcnt_depctr 0xfff
	v_fma_f32 v23, -v32, v25, 1.0
	v_fmac_f32_e32 v25, v23, v25
	v_div_scale_f32 v37, s2, v24, v13, v24
	v_mul_f32_e32 v26, v6, v26
	v_mul_f32_e32 v6, 4.0, v6
	s_mov_b32 vcc_lo, s2
	s_delay_alu instid0(VALU_DEP_3) | instskip(SKIP_2) | instid1(VALU_DEP_3)
	v_mul_f32_e32 v33, v37, v34
	v_div_scale_f32 v23, null, v27, v27, v11
	v_mul_f32_e32 v26, v1, v26
	v_fma_f32 v28, -v31, v33, v37
	s_delay_alu instid0(VALU_DEP_3) | instskip(NEXT) | instid1(VALU_DEP_2)
	v_rcp_f32_e32 v38, v23
	v_mul_f32_e32 v26, v26, v10
	s_delay_alu instid0(VALU_DEP_2) | instskip(SKIP_3) | instid1(VALU_DEP_1)
	v_fmac_f32_e32 v33, v28, v34
	v_div_scale_f32 v28, s4, v21, v13, v21
	v_fmac_f32_e32 v30, v10, v10
	v_mul_f32_e32 v10, v18, v10
	v_fma_f32 v1, v1, v8, -v10
	v_fma_f32 v10, -v31, v33, v37
	v_mul_f32_e32 v37, v28, v25
	v_fma_f32 v31, -v29, v16, v17
	v_mul_f32_e32 v26, v30, v26
	v_add_f32_e32 v8, v18, v8
	v_div_fmas_f32 v10, v10, v34, v33
	s_mov_b32 vcc_lo, s3
	v_fmac_f32_e32 v16, v31, v36
	v_fma_f32 v31, -v32, v37, v28
	v_div_scale_f32 v20, null, v22, v22, v26
	v_div_fixup_f32 v10, v10, v13, v24
	s_delay_alu instid0(VALU_DEP_4) | instskip(NEXT) | instid1(VALU_DEP_4)
	v_fma_f32 v17, -v29, v16, v17
	v_fmac_f32_e32 v37, v31, v25
	s_delay_alu instid0(VALU_DEP_4) | instskip(NEXT) | instid1(VALU_DEP_3)
	v_rcp_f32_e32 v30, v20
	v_add_f32_e32 v10, v14, v10
	s_delay_alu instid0(VALU_DEP_3) | instskip(NEXT) | instid1(VALU_DEP_3)
	v_div_fmas_f32 v16, v17, v36, v16
	v_fma_f32 v17, -v32, v37, v28
	s_mov_b32 vcc_lo, s4
	s_delay_alu instid0(VALU_DEP_2) | instskip(NEXT) | instid1(VALU_DEP_2)
	v_div_fixup_f32 v15, v16, v27, v15
	v_div_fmas_f32 v17, v17, v25, v37
	s_waitcnt_depctr 0xfff
	v_fma_f32 v35, -v20, v30, 1.0
	v_div_fixup_f32 v14, v17, v13, v21
	v_mov_b32_e32 v17, v10
	s_delay_alu instid0(VALU_DEP_3) | instskip(SKIP_2) | instid1(VALU_DEP_3)
	v_dual_mul_f32 v1, v6, v1 :: v_dual_fmac_f32 v30, v35, v30
	v_fma_f32 v35, -v23, v38, 1.0
	v_div_scale_f32 v6, s5, v26, v22, v26
	v_div_scale_f32 v39, null, v13, v13, v1
	s_delay_alu instid0(VALU_DEP_3) | instskip(NEXT) | instid1(VALU_DEP_3)
	v_fmac_f32_e32 v38, v35, v38
	v_mul_f32_e32 v40, v6, v30
	s_mov_b32 vcc_lo, s5
	s_delay_alu instid0(VALU_DEP_3) | instskip(NEXT) | instid1(VALU_DEP_2)
	v_rcp_f32_e32 v35, v39
	v_mul_f32_e32 v31, v41, v38
	s_delay_alu instid0(VALU_DEP_2) | instskip(NEXT) | instid1(VALU_DEP_2)
	v_fma_f32 v29, -v20, v40, v6
	v_fma_f32 v28, -v23, v31, v41
	s_delay_alu instid0(VALU_DEP_2)
	v_fmac_f32_e32 v40, v29, v30
	v_div_scale_f32 v29, s2, v1, v13, v1
	s_waitcnt_depctr 0xfff
	v_fma_f32 v33, -v39, v35, 1.0
	v_fmac_f32_e32 v31, v28, v38
	v_fma_f32 v6, -v20, v40, v6
	s_delay_alu instid0(VALU_DEP_3) | instskip(NEXT) | instid1(VALU_DEP_3)
	v_fmac_f32_e32 v35, v33, v35
	v_fma_f32 v19, -v23, v31, v41
	s_delay_alu instid0(VALU_DEP_3) | instskip(SKIP_1) | instid1(VALU_DEP_3)
	v_div_fmas_f32 v6, v6, v30, v40
	s_mov_b32 vcc_lo, s6
	v_mul_f32_e32 v20, v29, v35
	s_delay_alu instid0(VALU_DEP_3) | instskip(NEXT) | instid1(VALU_DEP_3)
	v_div_fmas_f32 v19, v19, v38, v31
	v_div_fixup_f32 v6, v6, v22, v26
	s_mov_b32 vcc_lo, s2
	s_delay_alu instid0(VALU_DEP_3) | instskip(NEXT) | instid1(VALU_DEP_2)
	v_fma_f32 v25, -v39, v20, v29
	v_add_f32_e32 v6, v9, v6
	v_div_fixup_f32 v9, v19, v27, v11
	s_delay_alu instid0(VALU_DEP_3) | instskip(NEXT) | instid1(VALU_DEP_2)
	v_fmac_f32_e32 v20, v25, v35
	v_add_f32_e32 v6, v9, v6
	s_delay_alu instid0(VALU_DEP_2) | instskip(NEXT) | instid1(VALU_DEP_1)
	v_fma_f32 v16, -v39, v20, v29
	v_div_fmas_f32 v11, v16, v35, v20
	v_cmp_lt_f32_e32 vcc_lo, v3, v7
	s_delay_alu instid0(VALU_DEP_2) | instskip(SKIP_2) | instid1(VALU_DEP_2)
	v_div_fixup_f32 v1, v11, v13, v1
	v_add_f32_e32 v8, v8, v15
	v_cndmask_b32_e32 v3, v3, v7, vcc_lo
	v_dual_add_f32 v19, v1, v6 :: v_dual_add_f32 v18, v14, v8
	v_mov_b32_e32 v1, v13
.LBB16_42:
	s_or_b32 exec_lo, exec_lo, s8
	s_delay_alu instid0(SALU_CYCLE_1)
	s_mov_b32 s2, exec_lo
	v_cmpx_eq_u32_e32 0, v5
	s_cbranch_execz .LBB16_44
; %bb.43:
	v_lshrrev_b32_e32 v6, 5, v0
	s_delay_alu instid0(VALU_DEP_1)
	v_mul_u32_u24_e32 v6, 28, v6
	ds_store_2addr_b32 v6, v1, v2 offset1:1
	ds_store_2addr_b32 v6, v3, v4 offset0:2 offset1:3
	ds_store_2addr_b32 v6, v17, v18 offset0:4 offset1:5
	ds_store_b32 v6, v19 offset:24
.LBB16_44:
	s_or_b32 exec_lo, exec_lo, s2
	s_delay_alu instid0(SALU_CYCLE_1)
	s_mov_b32 s8, exec_lo
	s_waitcnt lgkmcnt(0)
	s_barrier
	buffer_gl0_inv
	v_cmpx_gt_u32_e32 8, v0
	s_cbranch_execz .LBB16_52
; %bb.45:
	v_mul_u32_u24_e32 v7, 28, v5
	s_add_i32 s7, s7, 31
	ds_load_2addr_b32 v[1:2], v7 offset1:1
	ds_load_2addr_b32 v[3:4], v7 offset0:2 offset1:3
	ds_load_2addr_b32 v[17:18], v7 offset0:4 offset1:5
	ds_load_b32 v19, v7 offset:24
	v_and_b32_e32 v6, 7, v5
	s_lshr_b32 s7, s7, 5
	s_waitcnt lgkmcnt(1)
	v_mov_b32_e32 v13, v17
	s_delay_alu instid0(VALU_DEP_2) | instskip(SKIP_2) | instid1(VALU_DEP_1)
	v_cmp_ne_u32_e32 vcc_lo, 7, v6
	v_mov_b32_e32 v14, v18
	v_add_co_ci_u32_e32 v7, vcc_lo, 0, v5, vcc_lo
	v_lshlrev_b32_e32 v7, 2, v7
	ds_bpermute_b32 v11, v7, v1
	ds_bpermute_b32 v15, v7, v2
	;; [unrolled: 1-line block ×6, first 2 shown]
	s_waitcnt lgkmcnt(6)
	ds_bpermute_b32 v10, v7, v19
	v_add_nc_u32_e32 v7, 1, v6
	s_delay_alu instid0(VALU_DEP_1)
	v_cmp_gt_u32_e32 vcc_lo, s7, v7
	v_mov_b32_e32 v7, v1
	s_and_saveexec_b32 s19, vcc_lo
	s_cbranch_execz .LBB16_47
; %bb.46:
	s_waitcnt lgkmcnt(5)
	v_cmp_gt_f32_e32 vcc_lo, v2, v15
	s_waitcnt lgkmcnt(3)
	v_dual_sub_f32 v13, v16, v4 :: v_dual_mul_f32 v22, v17, v11
	v_mul_f32_e32 v23, v1, v1
	v_add_f32_e32 v7, v1, v11
	v_cndmask_b32_e32 v2, v2, v15, vcc_lo
	s_delay_alu instid0(VALU_DEP_4)
	v_dual_mul_f32 v14, v13, v11 :: v_dual_mul_f32 v29, 0x40400000, v13
	s_waitcnt lgkmcnt(2)
	v_dual_add_f32 v15, v17, v12 :: v_dual_mul_f32 v24, v11, v11
	v_fma_f32 v22, v1, v12, -v22
	v_mul_f32_e32 v12, v23, v12
	v_div_scale_f32 v21, null, v7, v7, v14
	v_mul_f32_e32 v28, v7, v7
	v_fma_f32 v31, -v1, v11, v23
	v_div_scale_f32 v34, vcc_lo, v14, v7, v14
	s_delay_alu instid0(VALU_DEP_4) | instskip(NEXT) | instid1(VALU_DEP_3)
	v_rcp_f32_e32 v26, v21
	v_dual_sub_f32 v16, v1, v11 :: v_dual_mul_f32 v23, v7, v28
	v_mul_f32_e32 v22, v29, v22
	v_dual_fmac_f32 v12, v17, v24 :: v_dual_fmac_f32 v31, v11, v11
	s_waitcnt lgkmcnt(0)
	v_add_f32_e32 v10, v19, v10
	s_waitcnt_depctr 0xfff
	v_fma_f32 v33, -v21, v26, 1.0
	s_delay_alu instid0(VALU_DEP_1) | instskip(NEXT) | instid1(VALU_DEP_1)
	v_fmac_f32_e32 v26, v33, v26
	v_dual_mul_f32 v20, v13, v13 :: v_dual_mul_f32 v29, v34, v26
	s_delay_alu instid0(VALU_DEP_1) | instskip(NEXT) | instid1(VALU_DEP_2)
	v_mul_f32_e32 v27, v13, v20
	v_fma_f32 v36, -v21, v29, v34
	s_delay_alu instid0(VALU_DEP_2) | instskip(SKIP_1) | instid1(VALU_DEP_3)
	v_mul_f32_e32 v30, v1, v27
	v_mul_f32_e32 v25, v1, v20
	v_dual_mul_f32 v20, 0x40c00000, v20 :: v_dual_fmac_f32 v29, v36, v26
	s_delay_alu instid0(VALU_DEP_3) | instskip(NEXT) | instid1(VALU_DEP_2)
	v_mul_f32_e32 v30, v30, v11
	v_dual_mul_f32 v25, v25, v11 :: v_dual_mul_f32 v12, v20, v12
	s_delay_alu instid0(VALU_DEP_3) | instskip(NEXT) | instid1(VALU_DEP_3)
	v_fma_f32 v21, -v21, v29, v34
	v_mul_f32_e32 v16, v16, v30
	s_delay_alu instid0(VALU_DEP_3) | instskip(SKIP_2) | instid1(VALU_DEP_4)
	v_div_scale_f32 v32, null, v7, v7, v25
	v_mul_f32_e32 v27, v13, v27
	v_div_scale_f32 v38, s2, v25, v7, v25
	v_div_scale_f32 v30, null, v28, v28, v16
	s_delay_alu instid0(VALU_DEP_4) | instskip(NEXT) | instid1(VALU_DEP_3)
	v_rcp_f32_e32 v35, v32
	v_mul_f32_e32 v27, v1, v27
	v_div_scale_f32 v17, s3, v16, v28, v16
	s_delay_alu instid0(VALU_DEP_3) | instskip(SKIP_1) | instid1(VALU_DEP_3)
	v_rcp_f32_e32 v37, v30
	v_div_fmas_f32 v21, v21, v26, v29
	v_mul_f32_e32 v27, v27, v11
	v_mul_f32_e32 v13, 4.0, v13
	v_mul_f32_e32 v11, v18, v11
	s_mov_b32 vcc_lo, s2
	s_delay_alu instid0(TRANS32_DEP_2) | instskip(SKIP_2) | instid1(TRANS32_DEP_1)
	v_fma_f32 v33, -v32, v35, 1.0
	v_div_fixup_f32 v21, v21, v7, v14
	v_div_scale_f32 v42, s6, v12, v28, v12
	v_fma_f32 v36, -v30, v37, 1.0
	v_fma_f32 v1, v1, v9, -v11
	v_add_f32_e32 v9, v18, v9
	v_add_f32_e32 v4, v4, v21
	s_delay_alu instid0(VALU_DEP_4) | instskip(NEXT) | instid1(VALU_DEP_1)
	v_fmac_f32_e32 v37, v36, v37
	v_dual_mul_f32 v27, v31, v27 :: v_dual_mul_f32 v20, v17, v37
	v_fmac_f32_e32 v35, v33, v35
	v_div_scale_f32 v33, null, v7, v7, v22
	s_delay_alu instid0(VALU_DEP_3) | instskip(NEXT) | instid1(VALU_DEP_3)
	v_div_scale_f32 v14, null, v23, v23, v27
	v_mul_f32_e32 v34, v38, v35
	s_delay_alu instid0(VALU_DEP_3) | instskip(NEXT) | instid1(VALU_DEP_2)
	v_rcp_f32_e32 v26, v33
	v_rcp_f32_e32 v31, v14
	s_delay_alu instid0(VALU_DEP_1) | instskip(NEXT) | instid1(VALU_DEP_1)
	v_fma_f32 v29, -v32, v34, v38
	v_fmac_f32_e32 v34, v29, v35
	s_waitcnt_depctr 0xfff
	v_fma_f32 v24, -v33, v26, 1.0
	v_div_scale_f32 v29, s4, v22, v7, v22
	v_fma_f32 v36, -v14, v31, 1.0
	v_fma_f32 v11, -v32, v34, v38
	s_delay_alu instid0(VALU_DEP_4) | instskip(SKIP_2) | instid1(VALU_DEP_3)
	v_fmac_f32_e32 v26, v24, v26
	v_div_scale_f32 v24, null, v28, v28, v12
	v_fma_f32 v32, -v30, v20, v17
	v_dual_fmac_f32 v31, v36, v31 :: v_dual_mul_f32 v38, v29, v26
	s_delay_alu instid0(VALU_DEP_3) | instskip(NEXT) | instid1(VALU_DEP_2)
	v_rcp_f32_e32 v39, v24
	v_fmac_f32_e32 v20, v32, v37
	v_div_fmas_f32 v11, v11, v35, v34
	s_delay_alu instid0(VALU_DEP_3) | instskip(SKIP_3) | instid1(VALU_DEP_4)
	v_fma_f32 v32, -v33, v38, v29
	v_mul_f32_e32 v1, v13, v1
	v_div_scale_f32 v13, s5, v27, v23, v27
	v_fma_f32 v17, -v30, v20, v17
	v_fmac_f32_e32 v38, v32, v26
	s_delay_alu instid0(TRANS32_DEP_1) | instskip(SKIP_3) | instid1(VALU_DEP_3)
	v_fma_f32 v36, -v24, v39, 1.0
	v_div_scale_f32 v40, null, v7, v7, v1
	s_mov_b32 vcc_lo, s3
	v_div_fixup_f32 v11, v11, v7, v25
	v_fmac_f32_e32 v39, v36, v39
	s_delay_alu instid0(VALU_DEP_3) | instskip(SKIP_3) | instid1(VALU_DEP_2)
	v_rcp_f32_e32 v36, v40
	v_div_fmas_f32 v17, v17, v37, v20
	v_fma_f32 v20, -v33, v38, v29
	s_mov_b32 vcc_lo, s4
	v_div_fixup_f32 v16, v17, v28, v16
	s_delay_alu instid0(VALU_DEP_2)
	v_div_fmas_f32 v20, v20, v26, v38
	s_mov_b32 vcc_lo, s5
	s_waitcnt_depctr 0xfff
	v_fma_f32 v34, -v40, v36, 1.0
	v_mul_f32_e32 v41, v13, v31
	v_add_f32_e32 v9, v9, v16
	s_delay_alu instid0(VALU_DEP_3) | instskip(NEXT) | instid1(VALU_DEP_3)
	v_fmac_f32_e32 v36, v34, v36
	v_fma_f32 v30, -v14, v41, v13
	s_delay_alu instid0(VALU_DEP_1) | instskip(SKIP_1) | instid1(VALU_DEP_2)
	v_fmac_f32_e32 v41, v30, v31
	v_div_scale_f32 v30, s2, v1, v7, v1
	v_fma_f32 v13, -v14, v41, v13
	s_delay_alu instid0(VALU_DEP_2) | instskip(SKIP_1) | instid1(VALU_DEP_3)
	v_mul_f32_e32 v14, v30, v36
	v_mul_f32_e32 v32, v42, v39
	v_div_fmas_f32 v13, v13, v31, v41
	s_delay_alu instid0(VALU_DEP_3) | instskip(NEXT) | instid1(VALU_DEP_3)
	v_fma_f32 v26, -v40, v14, v30
	v_fma_f32 v29, -v24, v32, v42
	s_mov_b32 vcc_lo, s6
	s_delay_alu instid0(VALU_DEP_3) | instskip(NEXT) | instid1(VALU_DEP_3)
	v_div_fixup_f32 v13, v13, v23, v27
	v_fmac_f32_e32 v14, v26, v36
	s_delay_alu instid0(VALU_DEP_3) | instskip(NEXT) | instid1(VALU_DEP_3)
	v_fmac_f32_e32 v32, v29, v39
	v_dual_add_f32 v10, v10, v13 :: v_dual_add_f32 v13, v15, v11
	s_delay_alu instid0(VALU_DEP_2) | instskip(NEXT) | instid1(VALU_DEP_4)
	v_fma_f32 v19, -v24, v32, v42
	v_fma_f32 v17, -v40, v14, v30
	v_div_fixup_f32 v11, v20, v7, v22
	s_delay_alu instid0(VALU_DEP_3) | instskip(SKIP_1) | instid1(VALU_DEP_3)
	v_div_fmas_f32 v19, v19, v39, v32
	s_mov_b32 vcc_lo, s2
	v_div_fmas_f32 v14, v17, v36, v14
	v_mov_b32_e32 v17, v13
	s_delay_alu instid0(VALU_DEP_3) | instskip(SKIP_1) | instid1(VALU_DEP_4)
	v_div_fixup_f32 v12, v19, v28, v12
	v_cmp_lt_f32_e32 vcc_lo, v3, v8
	v_div_fixup_f32 v1, v14, v7, v1
	s_delay_alu instid0(VALU_DEP_3) | instskip(SKIP_2) | instid1(VALU_DEP_3)
	v_add_f32_e32 v10, v12, v10
	v_add_f32_e32 v14, v11, v9
	v_cndmask_b32_e32 v3, v3, v8, vcc_lo
	v_add_f32_e32 v19, v1, v10
	s_delay_alu instid0(VALU_DEP_3)
	v_dual_mov_b32 v1, v7 :: v_dual_mov_b32 v18, v14
.LBB16_47:
	s_or_b32 exec_lo, exec_lo, s19
	v_cmp_gt_u32_e32 vcc_lo, 6, v6
	v_add_nc_u32_e32 v20, 2, v6
	s_mov_b32 s19, exec_lo
	s_waitcnt lgkmcnt(4)
	v_cndmask_b32_e64 v8, 0, 1, vcc_lo
	s_delay_alu instid0(VALU_DEP_1) | instskip(SKIP_1) | instid1(VALU_DEP_1)
	v_lshlrev_b32_e32 v8, 1, v8
	s_waitcnt lgkmcnt(0)
	v_add_lshl_u32 v10, v8, v5, 2
	ds_bpermute_b32 v11, v10, v7
	ds_bpermute_b32 v15, v10, v2
	;; [unrolled: 1-line block ×7, first 2 shown]
	v_cmpx_gt_u32_e64 s7, v20
	s_cbranch_execz .LBB16_49
; %bb.48:
	s_waitcnt lgkmcnt(5)
	v_cmp_gt_f32_e32 vcc_lo, v2, v15
	s_waitcnt lgkmcnt(3)
	v_dual_sub_f32 v13, v16, v4 :: v_dual_mul_f32 v22, v17, v11
	v_mul_f32_e32 v23, v1, v1
	v_add_f32_e32 v7, v1, v11
	v_cndmask_b32_e32 v2, v2, v15, vcc_lo
	s_delay_alu instid0(VALU_DEP_4)
	v_dual_mul_f32 v14, v13, v11 :: v_dual_mul_f32 v29, 0x40400000, v13
	s_waitcnt lgkmcnt(2)
	v_dual_add_f32 v15, v17, v12 :: v_dual_mul_f32 v24, v11, v11
	v_fma_f32 v22, v1, v12, -v22
	v_mul_f32_e32 v12, v23, v12
	v_div_scale_f32 v21, null, v7, v7, v14
	v_mul_f32_e32 v28, v7, v7
	v_fma_f32 v31, -v1, v11, v23
	v_div_scale_f32 v34, vcc_lo, v14, v7, v14
	s_delay_alu instid0(VALU_DEP_4) | instskip(NEXT) | instid1(VALU_DEP_3)
	v_rcp_f32_e32 v26, v21
	v_dual_sub_f32 v16, v1, v11 :: v_dual_mul_f32 v23, v7, v28
	v_mul_f32_e32 v22, v29, v22
	v_dual_fmac_f32 v12, v17, v24 :: v_dual_fmac_f32 v31, v11, v11
	s_waitcnt lgkmcnt(0)
	v_add_f32_e32 v10, v19, v10
	s_waitcnt_depctr 0xfff
	v_fma_f32 v33, -v21, v26, 1.0
	s_delay_alu instid0(VALU_DEP_1) | instskip(NEXT) | instid1(VALU_DEP_1)
	v_fmac_f32_e32 v26, v33, v26
	v_dual_mul_f32 v20, v13, v13 :: v_dual_mul_f32 v29, v34, v26
	s_delay_alu instid0(VALU_DEP_1) | instskip(NEXT) | instid1(VALU_DEP_2)
	v_mul_f32_e32 v27, v13, v20
	v_fma_f32 v36, -v21, v29, v34
	s_delay_alu instid0(VALU_DEP_2) | instskip(SKIP_1) | instid1(VALU_DEP_3)
	v_mul_f32_e32 v30, v1, v27
	v_mul_f32_e32 v25, v1, v20
	v_dual_mul_f32 v20, 0x40c00000, v20 :: v_dual_fmac_f32 v29, v36, v26
	s_delay_alu instid0(VALU_DEP_3) | instskip(NEXT) | instid1(VALU_DEP_2)
	v_mul_f32_e32 v30, v30, v11
	v_dual_mul_f32 v25, v25, v11 :: v_dual_mul_f32 v12, v20, v12
	s_delay_alu instid0(VALU_DEP_3) | instskip(NEXT) | instid1(VALU_DEP_3)
	v_fma_f32 v21, -v21, v29, v34
	v_mul_f32_e32 v16, v16, v30
	s_delay_alu instid0(VALU_DEP_3) | instskip(SKIP_2) | instid1(VALU_DEP_4)
	v_div_scale_f32 v32, null, v7, v7, v25
	v_mul_f32_e32 v27, v13, v27
	v_div_scale_f32 v38, s2, v25, v7, v25
	v_div_scale_f32 v30, null, v28, v28, v16
	s_delay_alu instid0(VALU_DEP_4) | instskip(NEXT) | instid1(VALU_DEP_3)
	v_rcp_f32_e32 v35, v32
	v_mul_f32_e32 v27, v1, v27
	v_div_scale_f32 v17, s3, v16, v28, v16
	s_delay_alu instid0(VALU_DEP_3) | instskip(SKIP_1) | instid1(VALU_DEP_3)
	v_rcp_f32_e32 v37, v30
	v_div_fmas_f32 v21, v21, v26, v29
	v_mul_f32_e32 v27, v27, v11
	v_mul_f32_e32 v13, 4.0, v13
	v_mul_f32_e32 v11, v18, v11
	s_mov_b32 vcc_lo, s2
	s_delay_alu instid0(TRANS32_DEP_2) | instskip(SKIP_2) | instid1(TRANS32_DEP_1)
	v_fma_f32 v33, -v32, v35, 1.0
	v_div_fixup_f32 v21, v21, v7, v14
	v_div_scale_f32 v42, s6, v12, v28, v12
	v_fma_f32 v36, -v30, v37, 1.0
	v_fma_f32 v1, v1, v9, -v11
	v_add_f32_e32 v9, v18, v9
	v_add_f32_e32 v4, v4, v21
	s_delay_alu instid0(VALU_DEP_4) | instskip(NEXT) | instid1(VALU_DEP_1)
	v_fmac_f32_e32 v37, v36, v37
	v_dual_mul_f32 v27, v31, v27 :: v_dual_mul_f32 v20, v17, v37
	v_fmac_f32_e32 v35, v33, v35
	v_div_scale_f32 v33, null, v7, v7, v22
	s_delay_alu instid0(VALU_DEP_3) | instskip(NEXT) | instid1(VALU_DEP_3)
	v_div_scale_f32 v14, null, v23, v23, v27
	v_mul_f32_e32 v34, v38, v35
	s_delay_alu instid0(VALU_DEP_3) | instskip(NEXT) | instid1(VALU_DEP_2)
	v_rcp_f32_e32 v26, v33
	v_rcp_f32_e32 v31, v14
	s_delay_alu instid0(VALU_DEP_1) | instskip(NEXT) | instid1(VALU_DEP_1)
	v_fma_f32 v29, -v32, v34, v38
	v_fmac_f32_e32 v34, v29, v35
	s_waitcnt_depctr 0xfff
	v_fma_f32 v24, -v33, v26, 1.0
	v_div_scale_f32 v29, s4, v22, v7, v22
	v_fma_f32 v36, -v14, v31, 1.0
	v_fma_f32 v11, -v32, v34, v38
	s_delay_alu instid0(VALU_DEP_4) | instskip(SKIP_2) | instid1(VALU_DEP_3)
	v_fmac_f32_e32 v26, v24, v26
	v_div_scale_f32 v24, null, v28, v28, v12
	v_fma_f32 v32, -v30, v20, v17
	v_dual_fmac_f32 v31, v36, v31 :: v_dual_mul_f32 v38, v29, v26
	s_delay_alu instid0(VALU_DEP_3) | instskip(NEXT) | instid1(VALU_DEP_2)
	v_rcp_f32_e32 v39, v24
	v_fmac_f32_e32 v20, v32, v37
	v_div_fmas_f32 v11, v11, v35, v34
	s_delay_alu instid0(VALU_DEP_3) | instskip(SKIP_3) | instid1(VALU_DEP_4)
	v_fma_f32 v32, -v33, v38, v29
	v_mul_f32_e32 v1, v13, v1
	v_div_scale_f32 v13, s5, v27, v23, v27
	v_fma_f32 v17, -v30, v20, v17
	v_fmac_f32_e32 v38, v32, v26
	s_delay_alu instid0(TRANS32_DEP_1) | instskip(SKIP_3) | instid1(VALU_DEP_3)
	v_fma_f32 v36, -v24, v39, 1.0
	v_div_scale_f32 v40, null, v7, v7, v1
	s_mov_b32 vcc_lo, s3
	v_div_fixup_f32 v11, v11, v7, v25
	v_fmac_f32_e32 v39, v36, v39
	s_delay_alu instid0(VALU_DEP_3) | instskip(SKIP_3) | instid1(VALU_DEP_2)
	v_rcp_f32_e32 v36, v40
	v_div_fmas_f32 v17, v17, v37, v20
	v_fma_f32 v20, -v33, v38, v29
	s_mov_b32 vcc_lo, s4
	v_div_fixup_f32 v16, v17, v28, v16
	s_delay_alu instid0(VALU_DEP_2)
	v_div_fmas_f32 v20, v20, v26, v38
	s_mov_b32 vcc_lo, s5
	s_waitcnt_depctr 0xfff
	v_fma_f32 v34, -v40, v36, 1.0
	v_mul_f32_e32 v41, v13, v31
	v_add_f32_e32 v9, v9, v16
	s_delay_alu instid0(VALU_DEP_3) | instskip(NEXT) | instid1(VALU_DEP_3)
	v_fmac_f32_e32 v36, v34, v36
	v_fma_f32 v30, -v14, v41, v13
	s_delay_alu instid0(VALU_DEP_1) | instskip(SKIP_1) | instid1(VALU_DEP_2)
	v_fmac_f32_e32 v41, v30, v31
	v_div_scale_f32 v30, s2, v1, v7, v1
	v_fma_f32 v13, -v14, v41, v13
	s_delay_alu instid0(VALU_DEP_2) | instskip(SKIP_1) | instid1(VALU_DEP_3)
	v_mul_f32_e32 v14, v30, v36
	v_mul_f32_e32 v32, v42, v39
	v_div_fmas_f32 v13, v13, v31, v41
	s_delay_alu instid0(VALU_DEP_3) | instskip(NEXT) | instid1(VALU_DEP_3)
	v_fma_f32 v26, -v40, v14, v30
	v_fma_f32 v29, -v24, v32, v42
	s_mov_b32 vcc_lo, s6
	s_delay_alu instid0(VALU_DEP_3) | instskip(NEXT) | instid1(VALU_DEP_3)
	v_div_fixup_f32 v13, v13, v23, v27
	v_fmac_f32_e32 v14, v26, v36
	s_delay_alu instid0(VALU_DEP_3) | instskip(NEXT) | instid1(VALU_DEP_3)
	v_fmac_f32_e32 v32, v29, v39
	v_dual_add_f32 v10, v10, v13 :: v_dual_add_f32 v13, v15, v11
	s_delay_alu instid0(VALU_DEP_2) | instskip(NEXT) | instid1(VALU_DEP_4)
	v_fma_f32 v19, -v24, v32, v42
	v_fma_f32 v17, -v40, v14, v30
	v_div_fixup_f32 v11, v20, v7, v22
	s_delay_alu instid0(VALU_DEP_3) | instskip(SKIP_1) | instid1(VALU_DEP_3)
	v_div_fmas_f32 v19, v19, v39, v32
	s_mov_b32 vcc_lo, s2
	v_div_fmas_f32 v14, v17, v36, v14
	v_mov_b32_e32 v17, v13
	s_delay_alu instid0(VALU_DEP_3) | instskip(SKIP_1) | instid1(VALU_DEP_4)
	v_div_fixup_f32 v12, v19, v28, v12
	v_cmp_lt_f32_e32 vcc_lo, v3, v8
	v_div_fixup_f32 v1, v14, v7, v1
	s_delay_alu instid0(VALU_DEP_3) | instskip(SKIP_2) | instid1(VALU_DEP_3)
	v_add_f32_e32 v10, v12, v10
	v_add_f32_e32 v14, v11, v9
	v_cndmask_b32_e32 v3, v3, v8, vcc_lo
	v_add_f32_e32 v19, v1, v10
	s_delay_alu instid0(VALU_DEP_3)
	v_dual_mov_b32 v1, v7 :: v_dual_mov_b32 v18, v14
.LBB16_49:
	s_or_b32 exec_lo, exec_lo, s19
	v_cmp_gt_u32_e32 vcc_lo, 4, v6
	v_add_nc_u32_e32 v6, 4, v6
	s_mov_b32 s6, exec_lo
	s_waitcnt lgkmcnt(4)
	v_cndmask_b32_e64 v8, 0, 1, vcc_lo
	s_delay_alu instid0(VALU_DEP_1) | instskip(NEXT) | instid1(VALU_DEP_1)
	v_lshlrev_b32_e32 v8, 2, v8
	v_add_lshl_u32 v8, v8, v5, 2
	s_waitcnt lgkmcnt(0)
	ds_bpermute_b32 v10, v8, v7
	ds_bpermute_b32 v11, v8, v2
	;; [unrolled: 1-line block ×7, first 2 shown]
	v_cmpx_gt_u32_e64 s7, v6
	s_cbranch_execz .LBB16_51
; %bb.50:
	s_waitcnt lgkmcnt(3)
	v_sub_f32_e32 v6, v12, v4
	v_cmp_gt_f32_e32 vcc_lo, v2, v11
	s_waitcnt lgkmcnt(0)
	v_add_f32_e32 v8, v19, v8
	v_mul_f32_e32 v16, v1, v1
	v_dual_mul_f32 v15, v17, v10 :: v_dual_cndmask_b32 v2, v2, v11
	v_sub_f32_e32 v11, v1, v10
	v_mul_f32_e32 v14, v6, v6
	v_mul_f32_e32 v13, v6, v10
	v_fma_f32 v29, -v1, v10, v16
	v_fma_f32 v15, v1, v7, -v15
	v_mul_f32_e32 v16, v16, v7
	v_mul_f32_e32 v24, v6, v14
	v_dual_mul_f32 v22, v10, v10 :: v_dual_add_f32 v7, v17, v7
	s_delay_alu instid0(VALU_DEP_2) | instskip(NEXT) | instid1(VALU_DEP_2)
	v_mul_f32_e32 v27, v1, v24
	v_fmac_f32_e32 v16, v17, v22
	s_delay_alu instid0(VALU_DEP_2) | instskip(NEXT) | instid1(VALU_DEP_1)
	v_mul_f32_e32 v27, v27, v10
	v_dual_add_f32 v12, v1, v10 :: v_dual_mul_f32 v11, v11, v27
	s_delay_alu instid0(VALU_DEP_1) | instskip(SKIP_3) | instid1(VALU_DEP_4)
	v_mul_f32_e32 v23, v12, v12
	v_mul_f32_e32 v21, v1, v14
	v_div_scale_f32 v20, null, v12, v12, v13
	v_div_scale_f32 v32, vcc_lo, v13, v12, v13
	v_mul_f32_e32 v27, v12, v23
	s_delay_alu instid0(VALU_DEP_4) | instskip(NEXT) | instid1(VALU_DEP_4)
	v_dual_mul_f32 v21, v21, v10 :: v_dual_mul_f32 v24, v6, v24
	v_rcp_f32_e32 v25, v20
	v_div_scale_f32 v22, s3, v11, v23, v11
	s_delay_alu instid0(VALU_DEP_2) | instskip(NEXT) | instid1(VALU_DEP_3)
	v_div_scale_f32 v28, null, v12, v12, v21
	v_mul_f32_e32 v24, v1, v24
	v_div_scale_f32 v35, s2, v21, v12, v21
	s_delay_alu instid0(VALU_DEP_3) | instskip(SKIP_1) | instid1(TRANS32_DEP_2)
	v_rcp_f32_e32 v31, v28
	v_mul_f32_e32 v14, 0x40c00000, v14
	v_fma_f32 v30, -v20, v25, 1.0
	v_mul_f32_e32 v26, 0x40400000, v6
	v_mul_f32_e32 v24, v24, v10
	s_delay_alu instid0(VALU_DEP_3) | instskip(SKIP_1) | instid1(TRANS32_DEP_1)
	v_dual_mul_f32 v6, 4.0, v6 :: v_dual_fmac_f32 v25, v30, v25
	v_div_scale_f32 v30, null, v23, v23, v11
	v_fma_f32 v34, -v28, v31, 1.0
	s_delay_alu instid0(VALU_DEP_2) | instskip(SKIP_1) | instid1(VALU_DEP_2)
	v_rcp_f32_e32 v36, v30
	v_fmac_f32_e32 v29, v10, v10
	v_fmac_f32_e32 v31, v34, v31
	v_mul_f32_e32 v33, v32, v25
	v_mul_f32_e32 v15, v26, v15
	;; [unrolled: 1-line block ×3, first 2 shown]
	s_delay_alu instid0(VALU_DEP_4) | instskip(NEXT) | instid1(VALU_DEP_4)
	v_mul_f32_e32 v26, v35, v31
	v_fma_f32 v37, -v20, v33, v32
	s_delay_alu instid0(VALU_DEP_3) | instskip(SKIP_1) | instid1(VALU_DEP_3)
	v_fma_f32 v1, v1, v9, -v10
	v_add_f32_e32 v9, v18, v9
	v_fmac_f32_e32 v33, v37, v25
	v_fma_f32 v37, -v28, v26, v35
	s_delay_alu instid0(VALU_DEP_4) | instskip(NEXT) | instid1(VALU_DEP_3)
	v_mul_f32_e32 v1, v6, v1
	v_fma_f32 v20, -v20, v33, v32
	v_fma_f32 v32, -v30, v36, 1.0
	s_delay_alu instid0(VALU_DEP_4) | instskip(NEXT) | instid1(VALU_DEP_3)
	v_fmac_f32_e32 v26, v37, v31
	v_div_fmas_f32 v20, v20, v25, v33
	s_delay_alu instid0(VALU_DEP_3) | instskip(SKIP_2) | instid1(VALU_DEP_4)
	v_fmac_f32_e32 v36, v32, v36
	v_mul_f32_e32 v24, v29, v24
	v_div_scale_f32 v34, null, v12, v12, v15
	v_div_fixup_f32 v13, v20, v12, v13
	s_mov_b32 vcc_lo, s2
	s_delay_alu instid0(VALU_DEP_3) | instskip(NEXT) | instid1(VALU_DEP_3)
	v_div_scale_f32 v20, null, v27, v27, v24
	v_rcp_f32_e32 v25, v34
	v_div_scale_f32 v33, s4, v15, v12, v15
	s_delay_alu instid0(VALU_DEP_2)
	v_rcp_f32_e32 v32, v20
	v_add_f32_e32 v4, v4, v13
	s_waitcnt_depctr 0xfff
	v_fma_f32 v29, -v34, v25, 1.0
	v_mul_f32_e32 v14, v14, v16
	v_fma_f32 v16, -v28, v26, v35
	v_fma_f32 v35, -v20, v32, 1.0
	s_delay_alu instid0(VALU_DEP_4) | instskip(NEXT) | instid1(VALU_DEP_4)
	v_dual_mul_f32 v28, v22, v36 :: v_dual_fmac_f32 v25, v29, v25
	v_div_scale_f32 v29, null, v23, v23, v14
	s_delay_alu instid0(VALU_DEP_4) | instskip(NEXT) | instid1(VALU_DEP_4)
	v_div_fmas_f32 v16, v16, v31, v26
	v_fmac_f32_e32 v32, v35, v32
	v_div_scale_f32 v31, null, v12, v12, v1
	s_delay_alu instid0(VALU_DEP_4) | instskip(SKIP_2) | instid1(VALU_DEP_3)
	v_rcp_f32_e32 v10, v29
	v_div_scale_f32 v35, s2, v24, v27, v24
	v_fma_f32 v6, -v30, v28, v22
	v_rcp_f32_e32 v38, v31
	s_mov_b32 vcc_lo, s3
	s_delay_alu instid0(VALU_DEP_2) | instskip(NEXT) | instid1(VALU_DEP_2)
	v_dual_mul_f32 v39, v35, v32 :: v_dual_mul_f32 v26, v33, v25
	v_fmac_f32_e32 v28, v6, v36
	s_waitcnt_depctr 0xfff
	v_fma_f32 v37, -v29, v10, 1.0
	v_fma_f32 v6, -v34, v26, v33
	v_fma_f32 v18, -v30, v28, v22
	v_fma_f32 v30, -v31, v38, 1.0
	s_delay_alu instid0(VALU_DEP_4) | instskip(SKIP_4) | instid1(VALU_DEP_4)
	v_fmac_f32_e32 v10, v37, v10
	v_div_scale_f32 v37, s5, v14, v23, v14
	v_fmac_f32_e32 v26, v6, v25
	v_fma_f32 v6, -v20, v39, v35
	v_div_fmas_f32 v18, v18, v36, v28
	v_mul_f32_e32 v22, v37, v10
	v_fmac_f32_e32 v38, v30, v38
	v_fma_f32 v28, -v34, v26, v33
	v_fmac_f32_e32 v39, v6, v32
	v_div_scale_f32 v30, s3, v1, v12, v1
	s_mov_b32 vcc_lo, s4
	v_fma_f32 v6, -v29, v22, v37
	v_div_fmas_f32 v25, v28, v25, v26
	v_fma_f32 v20, -v20, v39, v35
	v_mul_f32_e32 v26, v30, v38
	s_mov_b32 vcc_lo, s2
	v_fmac_f32_e32 v22, v6, v10
	v_div_fixup_f32 v11, v18, v23, v11
	v_div_fmas_f32 v6, v20, v32, v39
	v_fma_f32 v20, -v31, v26, v30
	s_mov_b32 vcc_lo, s5
	v_fma_f32 v18, -v29, v22, v37
	v_add_f32_e32 v9, v9, v11
	v_div_fixup_f32 v6, v6, v27, v24
	v_fmac_f32_e32 v26, v20, v38
	v_div_fixup_f32 v11, v25, v12, v15
	v_div_fmas_f32 v10, v18, v10, v22
	s_mov_b32 vcc_lo, s3
	v_add_f32_e32 v6, v8, v6
	v_fma_f32 v15, -v31, v26, v30
	v_add_f32_e32 v18, v11, v9
	v_div_fixup_f32 v8, v10, v23, v14
	v_div_fixup_f32 v14, v16, v12, v21
	s_delay_alu instid0(VALU_DEP_4) | instskip(SKIP_1) | instid1(VALU_DEP_4)
	v_div_fmas_f32 v10, v15, v38, v26
	v_cmp_lt_f32_e32 vcc_lo, v3, v5
	v_add_f32_e32 v6, v8, v6
	s_delay_alu instid0(VALU_DEP_4) | instskip(NEXT) | instid1(VALU_DEP_4)
	v_add_f32_e32 v17, v7, v14
	v_div_fixup_f32 v1, v10, v12, v1
	v_cndmask_b32_e32 v3, v3, v5, vcc_lo
	s_delay_alu instid0(VALU_DEP_2)
	v_add_f32_e32 v19, v1, v6
	v_mov_b32_e32 v1, v12
.LBB16_51:
	s_or_b32 exec_lo, exec_lo, s6
.LBB16_52:
	s_delay_alu instid0(SALU_CYCLE_1)
	s_or_b32 exec_lo, exec_lo, s8
.LBB16_53:
	s_mov_b32 s19, 0
                                        ; implicit-def: $vgpr14
                                        ; implicit-def: $vgpr8
	s_mov_b32 s2, exec_lo
	v_cmpx_eq_u32_e32 0, v0
	s_xor_b32 s7, exec_lo, s2
	s_cbranch_execz .LBB16_57
; %bb.54:
	v_dual_mov_b32 v14, s18 :: v_dual_mov_b32 v13, s17
	s_waitcnt lgkmcnt(2)
	v_dual_mov_b32 v12, s16 :: v_dual_mov_b32 v7, s14
	s_waitcnt lgkmcnt(0)
	v_dual_mov_b32 v8, s15 :: v_dual_mov_b32 v5, s12
	v_mov_b32_e32 v6, s13
	s_cmp_eq_u64 s[22:23], 0
	s_cbranch_scc1 .LBB16_56
; %bb.55:
	v_dual_subrev_f32 v4, s15, v4 :: v_dual_add_f32 v5, s12, v1
	v_cmp_gt_f32_e32 vcc_lo, s13, v2
	v_sub_f32_e32 v7, s12, v1
	v_mul_f32_e64 v11, s12, s12
	s_delay_alu instid0(VALU_DEP_4) | instskip(SKIP_2) | instid1(VALU_DEP_4)
	v_mul_f32_e32 v20, 0x40400000, v4
	v_dual_mul_f32 v9, v4, v4 :: v_dual_cndmask_b32 v6, s13, v2
	v_mul_f32_e32 v16, v5, v5
	v_fma_f32 v22, -s12, v1, v11
	s_delay_alu instid0(VALU_DEP_3) | instskip(SKIP_1) | instid1(VALU_DEP_2)
	v_dual_add_f32 v19, s18, v19 :: v_dual_mul_f32 v14, v4, v9
	v_mul_f32_e32 v2, v4, v1
	v_dual_fmac_f32 v22, v1, v1 :: v_dual_mul_f32 v21, s12, v14
	s_delay_alu instid0(VALU_DEP_2) | instskip(SKIP_1) | instid1(VALU_DEP_3)
	v_div_scale_f32 v10, null, v5, v5, v2
	v_div_scale_f32 v25, vcc_lo, v2, v5, v2
	v_mul_f32_e32 v21, v1, v21
	s_delay_alu instid0(VALU_DEP_3) | instskip(SKIP_2) | instid1(VALU_DEP_1)
	v_rcp_f32_e32 v15, v10
	s_waitcnt_depctr 0xfff
	v_fma_f32 v24, -v10, v15, 1.0
	v_dual_mul_f32 v8, s16, v1 :: v_dual_fmac_f32 v15, v24, v15
	s_delay_alu instid0(VALU_DEP_1) | instskip(SKIP_4) | instid1(VALU_DEP_4)
	v_fma_f32 v8, s12, v17, -v8
	v_mul_f32_e32 v13, s12, v9
	v_mul_f32_e32 v7, v7, v21
	;; [unrolled: 1-line block ×4, first 2 shown]
	v_dual_mul_f32 v8, v20, v8 :: v_dual_mul_f32 v13, v13, v1
	v_dual_mul_f32 v14, v4, v14 :: v_dual_mul_f32 v9, 0x40c00000, v9
	s_delay_alu instid0(VALU_DEP_3) | instskip(NEXT) | instid1(VALU_DEP_3)
	v_fma_f32 v29, -v10, v24, v25
	v_div_scale_f32 v23, null, v5, v5, v13
	v_div_scale_f32 v30, s2, v13, v5, v13
	s_delay_alu instid0(VALU_DEP_4) | instskip(NEXT) | instid1(VALU_DEP_3)
	v_mul_f32_e32 v14, s12, v14
	v_rcp_f32_e32 v26, v23
	v_fmac_f32_e32 v24, v29, v15
	s_delay_alu instid0(VALU_DEP_2) | instskip(NEXT) | instid1(VALU_DEP_2)
	v_mul_f32_e32 v14, v1, v14
	v_fma_f32 v10, -v10, v24, v25
	s_waitcnt_depctr 0xfff
	v_fma_f32 v27, -v23, v26, 1.0
	s_delay_alu instid0(VALU_DEP_1) | instskip(SKIP_3) | instid1(VALU_DEP_3)
	v_fmac_f32_e32 v26, v27, v26
	v_mul_f32_e32 v12, v1, v1
	v_div_scale_f32 v27, null, v5, v5, v8
	v_mul_f32_e32 v1, s17, v1
	v_dual_mul_f32 v29, v30, v26 :: v_dual_mul_f32 v12, s16, v12
	s_delay_alu instid0(VALU_DEP_3) | instskip(NEXT) | instid1(VALU_DEP_2)
	v_rcp_f32_e32 v25, v27
	v_fma_f32 v1, s12, v18, -v1
	s_delay_alu instid0(VALU_DEP_2) | instskip(SKIP_3) | instid1(VALU_DEP_4)
	v_fmac_f32_e32 v12, v11, v17
	v_mul_f32_e32 v14, v22, v14
	v_fma_f32 v22, -v23, v29, v30
	v_add_f32_e32 v17, s16, v17
	v_mul_f32_e32 v9, v9, v12
	s_delay_alu instid0(TRANS32_DEP_1) | instskip(NEXT) | instid1(VALU_DEP_4)
	v_fma_f32 v11, -v27, v25, 1.0
	v_fmac_f32_e32 v29, v22, v26
	v_div_scale_f32 v20, null, v16, v16, v7
	v_div_scale_f32 v22, s4, v8, v5, v8
	s_delay_alu instid0(VALU_DEP_4) | instskip(NEXT) | instid1(VALU_DEP_3)
	v_fmac_f32_e32 v25, v11, v25
	v_rcp_f32_e32 v28, v20
	v_div_fmas_f32 v10, v10, v15, v24
	v_div_scale_f32 v15, null, v21, v21, v14
	v_div_scale_f32 v11, null, v16, v16, v9
	v_mul_f32_e32 v33, v22, v25
	s_delay_alu instid0(VALU_DEP_3) | instskip(SKIP_1) | instid1(VALU_DEP_3)
	v_rcp_f32_e32 v24, v15
	v_mul_f32_e32 v4, 4.0, v4
	v_rcp_f32_e32 v32, v11
	s_delay_alu instid0(TRANS32_DEP_3) | instskip(SKIP_2) | instid1(VALU_DEP_3)
	v_fma_f32 v31, -v20, v28, 1.0
	v_div_fixup_f32 v2, v10, v5, v2
	v_div_scale_f32 v10, s3, v7, v16, v7
	v_dual_mul_f32 v1, v4, v1 :: v_dual_fmac_f32 v28, v31, v28
	v_fma_f32 v23, -v23, v29, v30
	s_delay_alu instid0(TRANS32_DEP_2) | instskip(SKIP_1) | instid1(VALU_DEP_3)
	v_fma_f32 v31, -v15, v24, 1.0
	s_mov_b32 vcc_lo, s2
	v_div_scale_f32 v34, null, v5, v5, v1
	s_delay_alu instid0(VALU_DEP_3) | instskip(NEXT) | instid1(VALU_DEP_3)
	v_div_fmas_f32 v23, v23, v26, v29
	v_fmac_f32_e32 v24, v31, v24
	v_fma_f32 v31, -v11, v32, 1.0
	v_div_scale_f32 v4, s5, v14, v21, v14
	s_mov_b32 vcc_lo, s3
	v_div_scale_f32 v36, s6, v9, v16, v9
	s_delay_alu instid0(VALU_DEP_3) | instskip(SKIP_4) | instid1(VALU_DEP_1)
	v_fmac_f32_e32 v32, v31, v32
	v_rcp_f32_e32 v31, v34
	v_mul_f32_e32 v35, v4, v24
	s_waitcnt_depctr 0xfff
	v_fma_f32 v29, -v34, v31, 1.0
	v_dual_mul_f32 v12, v10, v28 :: v_dual_fmac_f32 v31, v29, v31
	s_delay_alu instid0(VALU_DEP_1) | instskip(NEXT) | instid1(VALU_DEP_1)
	v_fma_f32 v30, -v20, v12, v10
	v_fmac_f32_e32 v12, v30, v28
	v_fma_f32 v30, -v27, v33, v22
	s_delay_alu instid0(VALU_DEP_2) | instskip(SKIP_1) | instid1(VALU_DEP_3)
	v_fma_f32 v10, -v20, v12, v10
	v_fma_f32 v20, -v15, v35, v4
	v_fmac_f32_e32 v33, v30, v25
	s_delay_alu instid0(VALU_DEP_3) | instskip(NEXT) | instid1(VALU_DEP_3)
	v_div_fmas_f32 v10, v10, v28, v12
	v_fmac_f32_e32 v35, v20, v24
	s_delay_alu instid0(VALU_DEP_3) | instskip(SKIP_2) | instid1(VALU_DEP_3)
	v_fma_f32 v12, -v27, v33, v22
	v_div_scale_f32 v22, s2, v1, v5, v1
	s_mov_b32 vcc_lo, s4
	v_fma_f32 v4, -v15, v35, v4
	s_delay_alu instid0(VALU_DEP_3)
	v_div_fmas_f32 v12, v12, v25, v33
	s_mov_b32 vcc_lo, s5
	v_mul_f32_e32 v15, v22, v31
	v_div_fixup_f32 v7, v10, v16, v7
	v_div_fmas_f32 v4, v4, v24, v35
	s_mov_b32 vcc_lo, s6
	s_delay_alu instid0(VALU_DEP_1) | instskip(SKIP_2) | instid1(VALU_DEP_3)
	v_div_fixup_f32 v4, v4, v21, v14
	v_add_f32_e32 v14, s17, v18
	v_mul_f32_e32 v26, v36, v32
	v_add_f32_e32 v4, v19, v4
	s_delay_alu instid0(VALU_DEP_2) | instskip(NEXT) | instid1(VALU_DEP_1)
	v_fma_f32 v20, -v11, v26, v36
	v_fmac_f32_e32 v26, v20, v32
	v_fma_f32 v20, -v34, v15, v22
	s_delay_alu instid0(VALU_DEP_2) | instskip(NEXT) | instid1(VALU_DEP_2)
	v_fma_f32 v11, -v11, v26, v36
	v_fmac_f32_e32 v15, v20, v31
	s_delay_alu instid0(VALU_DEP_2) | instskip(NEXT) | instid1(VALU_DEP_2)
	v_div_fmas_f32 v11, v11, v32, v26
	v_fma_f32 v10, -v34, v15, v22
	s_mov_b32 vcc_lo, s2
	s_delay_alu instid0(VALU_DEP_2) | instskip(NEXT) | instid1(VALU_DEP_2)
	v_div_fixup_f32 v9, v11, v16, v9
	v_div_fmas_f32 v10, v10, v31, v15
	v_div_fixup_f32 v11, v23, v5, v13
	v_add_f32_e32 v13, v14, v7
	v_div_fixup_f32 v14, v12, v5, v8
	v_add_f32_e32 v4, v9, v4
	v_div_fixup_f32 v1, v10, v5, v1
	v_cmp_lt_f32_e32 vcc_lo, s14, v3
	s_delay_alu instid0(VALU_DEP_4) | instskip(SKIP_1) | instid1(VALU_DEP_4)
	v_dual_add_f32 v8, s15, v2 :: v_dual_add_f32 v13, v14, v13
	v_add_f32_e32 v12, v17, v11
	v_dual_add_f32 v14, v1, v4 :: v_dual_cndmask_b32 v7, s14, v3
.LBB16_56:
	s_mov_b32 s19, exec_lo
.LBB16_57:
	s_or_b32 exec_lo, exec_lo, s7
	s_delay_alu instid0(SALU_CYCLE_1)
	s_and_b32 vcc_lo, exec_lo, s26
	s_cbranch_vccnz .LBB16_12
.LBB16_58:
	s_branch .LBB16_100
.LBB16_59:
                                        ; implicit-def: $vgpr1
                                        ; implicit-def: $vgpr9
	s_cbranch_execz .LBB16_87
; %bb.60:
	s_sub_i32 s6, s22, s26
	s_mov_b32 s2, exec_lo
                                        ; implicit-def: $vgpr11
                                        ; implicit-def: $vgpr4
	v_cmpx_gt_u32_e64 s6, v0
	s_cbranch_execz .LBB16_62
; %bb.61:
	s_waitcnt lgkmcnt(4)
	v_mad_u64_u32 v[5:6], null, v0, 28, s[24:25]
	global_load_b128 v[1:4], v[5:6], off
	s_waitcnt lgkmcnt(1)
	global_load_b96 v[9:11], v[5:6], off offset:16
.LBB16_62:
	s_or_b32 exec_lo, exec_lo, s2
	s_waitcnt lgkmcnt(4)
	v_or_b32_e32 v5, 0x100, v0
                                        ; implicit-def: $vgpr12
                                        ; implicit-def: $vgpr8
	s_delay_alu instid0(VALU_DEP_1)
	v_cmp_gt_u32_e32 vcc_lo, s6, v5
	s_and_saveexec_b32 s2, vcc_lo
	s_cbranch_execz .LBB16_64
; %bb.63:
	s_waitcnt lgkmcnt(3)
	v_mad_u64_u32 v[12:13], null, v5, 28, s[24:25]
	s_waitcnt lgkmcnt(0)
	s_clause 0x1
	global_load_b128 v[5:8], v[12:13], off
	global_load_b96 v[12:14], v[12:13], off offset:16
.LBB16_64:
	s_or_b32 exec_lo, exec_lo, s2
	s_and_saveexec_b32 s7, vcc_lo
	s_cbranch_execz .LBB16_66
; %bb.65:
	s_waitcnt vmcnt(1) lgkmcnt(0)
	v_dual_sub_f32 v8, v8, v4 :: v_dual_add_f32 v15, v1, v5
	v_cmp_lt_f32_e32 vcc_lo, v6, v2
	s_waitcnt vmcnt(0)
	v_add_f32_e32 v11, v11, v14
	s_delay_alu instid0(VALU_DEP_3) | instskip(SKIP_2) | instid1(VALU_DEP_3)
	v_dual_mul_f32 v21, v9, v5 :: v_dual_mul_f32 v16, v8, v8
	v_dual_mul_f32 v25, v15, v15 :: v_dual_cndmask_b32 v2, v2, v6
	v_dual_add_f32 v17, v9, v12 :: v_dual_mul_f32 v6, v8, v5
	v_dual_sub_f32 v18, v1, v5 :: v_dual_mul_f32 v23, v8, v16
	v_mul_f32_e32 v26, 0x40400000, v8
	v_fma_f32 v21, v1, v12, -v21
	s_delay_alu instid0(VALU_DEP_4) | instskip(NEXT) | instid1(VALU_DEP_4)
	v_div_scale_f32 v19, null, v15, v15, v6
	v_mul_f32_e32 v27, v1, v23
	s_delay_alu instid0(VALU_DEP_3) | instskip(NEXT) | instid1(VALU_DEP_3)
	v_dual_mul_f32 v20, v1, v16 :: v_dual_mul_f32 v21, v26, v21
	v_rcp_f32_e32 v24, v19
	v_div_scale_f32 v32, vcc_lo, v6, v15, v6
	s_delay_alu instid0(VALU_DEP_2) | instskip(SKIP_3) | instid1(VALU_DEP_4)
	v_mul_f32_e32 v20, v5, v20
	v_dual_mul_f32 v22, v1, v1 :: v_dual_mul_f32 v23, v8, v23
	v_mul_f32_e32 v16, 0x40c00000, v16
	v_mul_f32_e32 v8, 4.0, v8
	v_div_scale_f32 v28, null, v15, v15, v20
	s_delay_alu instid0(TRANS32_DEP_1) | instskip(SKIP_2) | instid1(VALU_DEP_4)
	v_fma_f32 v30, -v19, v24, 1.0
	v_mul_f32_e32 v27, v5, v27
	v_fma_f32 v29, -v1, v5, v22
	v_rcp_f32_e32 v31, v28
	s_delay_alu instid0(VALU_DEP_3) | instskip(NEXT) | instid1(VALU_DEP_2)
	v_dual_mul_f32 v23, v1, v23 :: v_dual_fmac_f32 v24, v30, v24
	v_dual_mul_f32 v18, v18, v27 :: v_dual_fmac_f32 v29, v5, v5
	s_delay_alu instid0(VALU_DEP_2) | instskip(NEXT) | instid1(VALU_DEP_2)
	v_mul_f32_e32 v27, v32, v24
	v_div_scale_f32 v26, null, v25, v25, v18
	s_waitcnt_depctr 0xfff
	v_fma_f32 v30, -v28, v31, 1.0
	v_fma_f32 v35, -v19, v27, v32
	v_rcp_f32_e32 v34, v26
	s_delay_alu instid0(VALU_DEP_2)
	v_fmac_f32_e32 v31, v30, v31
	v_div_scale_f32 v33, s2, v20, v15, v20
	v_mul_f32_e32 v36, v15, v25
	v_div_scale_f32 v30, null, v15, v15, v21
	s_waitcnt_depctr 0xfff
	v_fma_f32 v38, -v26, v34, 1.0
	v_fmac_f32_e32 v27, v35, v24
	v_mul_f32_e32 v35, v33, v31
	v_rcp_f32_e32 v37, v30
	s_delay_alu instid0(VALU_DEP_3) | instskip(NEXT) | instid1(VALU_DEP_3)
	v_dual_fmac_f32 v34, v38, v34 :: v_dual_mul_f32 v39, v5, v5
	v_fma_f32 v19, -v19, v27, v32
	s_delay_alu instid0(VALU_DEP_3) | instskip(NEXT) | instid1(VALU_DEP_3)
	v_fma_f32 v32, -v28, v35, v33
	v_mul_f32_e32 v9, v9, v39
	s_delay_alu instid0(VALU_DEP_3) | instskip(NEXT) | instid1(VALU_DEP_3)
	v_div_fmas_f32 v19, v19, v24, v27
	v_fmac_f32_e32 v35, v32, v31
	s_mov_b32 vcc_lo, s2
	s_delay_alu instid0(VALU_DEP_3) | instskip(SKIP_3) | instid1(VALU_DEP_4)
	v_fmac_f32_e32 v9, v22, v12
	v_div_scale_f32 v12, s3, v18, v25, v18
	v_mul_f32_e32 v23, v5, v23
	v_div_fixup_f32 v6, v19, v15, v6
	v_mul_f32_e32 v9, v16, v9
	v_fma_f32 v16, -v28, v35, v33
	s_delay_alu instid0(VALU_DEP_4) | instskip(NEXT) | instid1(VALU_DEP_4)
	v_dual_mul_f32 v28, v12, v34 :: v_dual_mul_f32 v23, v29, v23
	v_dual_mul_f32 v5, v10, v5 :: v_dual_add_f32 v4, v4, v6
	v_add_f32_e32 v10, v10, v13
	v_fma_f32 v22, -v30, v37, 1.0
	s_delay_alu instid0(VALU_DEP_4) | instskip(NEXT) | instid1(VALU_DEP_4)
	v_div_scale_f32 v24, null, v36, v36, v23
	v_fma_f32 v1, v1, v13, -v5
	v_div_scale_f32 v29, s4, v21, v15, v21
	s_delay_alu instid0(VALU_DEP_3) | instskip(SKIP_1) | instid1(VALU_DEP_3)
	v_rcp_f32_e32 v27, v24
	v_div_scale_f32 v33, s2, v23, v36, v23
	v_mul_f32_e32 v1, v8, v1
	v_fma_f32 v8, -v26, v28, v12
	s_delay_alu instid0(VALU_DEP_1) | instskip(SKIP_3) | instid1(VALU_DEP_2)
	v_fmac_f32_e32 v28, v8, v34
	s_waitcnt_depctr 0xfff
	v_fma_f32 v32, -v24, v27, 1.0
	v_fma_f32 v12, -v26, v28, v12
	v_fmac_f32_e32 v27, v32, v27
	v_div_scale_f32 v32, null, v15, v15, v1
	s_delay_alu instid0(VALU_DEP_2) | instskip(NEXT) | instid1(VALU_DEP_2)
	v_mul_f32_e32 v39, v33, v27
	v_rcp_f32_e32 v38, v32
	s_waitcnt_depctr 0xfff
	v_fma_f32 v26, -v32, v38, 1.0
	s_delay_alu instid0(VALU_DEP_1)
	v_fmac_f32_e32 v38, v26, v38
	v_div_fmas_f32 v16, v16, v31, v35
	s_mov_b32 vcc_lo, s3
	v_div_scale_f32 v26, s3, v1, v15, v1
	v_div_fmas_f32 v12, v12, v34, v28
	s_mov_b32 vcc_lo, s4
	s_delay_alu instid0(VALU_DEP_1) | instskip(NEXT) | instid1(VALU_DEP_1)
	v_div_fixup_f32 v12, v12, v25, v18
	v_add_f32_e32 v10, v10, v12
	v_fmac_f32_e32 v37, v22, v37
	v_div_scale_f32 v22, null, v25, v25, v9
	s_delay_alu instid0(VALU_DEP_2) | instskip(NEXT) | instid1(VALU_DEP_2)
	v_mul_f32_e32 v31, v29, v37
	v_rcp_f32_e32 v5, v22
	s_delay_alu instid0(VALU_DEP_1) | instskip(NEXT) | instid1(VALU_DEP_1)
	v_fma_f32 v8, -v30, v31, v29
	v_fmac_f32_e32 v31, v8, v37
	s_waitcnt_depctr 0xfff
	v_fma_f32 v35, -v22, v5, 1.0
	v_fma_f32 v8, -v24, v39, v33
	v_fma_f32 v28, -v30, v31, v29
	s_delay_alu instid0(VALU_DEP_3) | instskip(SKIP_1) | instid1(VALU_DEP_4)
	v_fmac_f32_e32 v5, v35, v5
	v_div_scale_f32 v35, s5, v9, v25, v9
	v_fmac_f32_e32 v39, v8, v27
	v_mul_f32_e32 v29, v26, v38
	v_div_fmas_f32 v28, v28, v37, v31
	s_delay_alu instid0(VALU_DEP_4) | instskip(SKIP_2) | instid1(VALU_DEP_2)
	v_mul_f32_e32 v13, v35, v5
	s_mov_b32 vcc_lo, s2
	v_fma_f32 v24, -v24, v39, v33
	v_fma_f32 v8, -v22, v13, v35
	s_delay_alu instid0(VALU_DEP_1) | instskip(NEXT) | instid1(VALU_DEP_3)
	v_fmac_f32_e32 v13, v8, v5
	v_div_fmas_f32 v8, v24, v27, v39
	v_fma_f32 v24, -v32, v29, v26
	s_mov_b32 vcc_lo, s5
	s_delay_alu instid0(VALU_DEP_3) | instskip(NEXT) | instid1(VALU_DEP_3)
	v_fma_f32 v14, -v22, v13, v35
	v_div_fixup_f32 v8, v8, v36, v23
	s_delay_alu instid0(VALU_DEP_3) | instskip(NEXT) | instid1(VALU_DEP_3)
	v_fmac_f32_e32 v29, v24, v38
	v_div_fmas_f32 v5, v14, v5, v13
	s_mov_b32 vcc_lo, s3
	s_delay_alu instid0(VALU_DEP_2)
	v_fma_f32 v12, -v32, v29, v26
	v_div_fixup_f32 v13, v16, v15, v20
	v_add_f32_e32 v8, v11, v8
	v_div_fixup_f32 v5, v5, v25, v9
	v_div_fixup_f32 v11, v28, v15, v21
	v_div_fmas_f32 v9, v12, v38, v29
	v_add_f32_e32 v12, v17, v13
	v_cmp_lt_f32_e32 vcc_lo, v3, v7
	s_delay_alu instid0(VALU_DEP_4) | instskip(NEXT) | instid1(VALU_DEP_4)
	v_dual_add_f32 v5, v5, v8 :: v_dual_add_f32 v10, v11, v10
	v_div_fixup_f32 v1, v9, v15, v1
	s_delay_alu instid0(VALU_DEP_4) | instskip(SKIP_1) | instid1(VALU_DEP_3)
	v_mov_b32_e32 v9, v12
	v_cndmask_b32_e32 v3, v3, v7, vcc_lo
	v_add_f32_e32 v11, v1, v5
	v_mov_b32_e32 v1, v15
.LBB16_66:
	s_or_b32 exec_lo, exec_lo, s7
	s_waitcnt vmcnt(1)
	v_mbcnt_lo_u32_b32 v5, -1, 0
	s_min_u32 s6, s6, 0x100
	s_mov_b32 s7, exec_lo
	s_delay_alu instid0(VALU_DEP_1) | instskip(SKIP_2) | instid1(VALU_DEP_1)
	v_cmp_ne_u32_e32 vcc_lo, 31, v5
	v_add_nc_u32_e32 v17, 1, v5
	v_add_co_ci_u32_e32 v6, vcc_lo, 0, v5, vcc_lo
	v_lshlrev_b32_e32 v6, 2, v6
	s_waitcnt vmcnt(0)
	ds_bpermute_b32 v13, v6, v1
	ds_bpermute_b32 v15, v6, v2
	s_waitcnt lgkmcnt(4)
	ds_bpermute_b32 v7, v6, v3
	ds_bpermute_b32 v16, v6, v4
	s_waitcnt lgkmcnt(5)
	;; [unrolled: 3-line block ×3, first 2 shown]
	ds_bpermute_b32 v8, v6, v11
	v_and_b32_e32 v6, 0xe0, v0
	s_delay_alu instid0(VALU_DEP_1) | instskip(NEXT) | instid1(VALU_DEP_1)
	v_sub_nc_u32_e64 v6, s6, v6 clamp
	v_cmpx_lt_u32_e64 v17, v6
	s_cbranch_execz .LBB16_68
; %bb.67:
	s_waitcnt lgkmcnt(3)
	v_dual_sub_f32 v16, v16, v4 :: v_dual_add_f32 v17, v1, v13
	v_cmp_gt_f32_e32 vcc_lo, v2, v15
	s_waitcnt lgkmcnt(0)
	v_add_f32_e32 v8, v11, v8
	s_delay_alu instid0(VALU_DEP_3) | instskip(SKIP_3) | instid1(VALU_DEP_4)
	v_dual_sub_f32 v20, v1, v13 :: v_dual_mul_f32 v19, v16, v16
	v_mul_f32_e32 v18, v16, v13
	v_mul_f32_e32 v21, v9, v13
	v_dual_mul_f32 v25, v17, v17 :: v_dual_mul_f32 v28, 0x40400000, v16
	v_mul_f32_e32 v23, v1, v19
	s_delay_alu instid0(VALU_DEP_4) | instskip(SKIP_2) | instid1(VALU_DEP_4)
	v_div_scale_f32 v22, null, v17, v17, v18
	v_mul_f32_e32 v26, v16, v19
	v_fma_f32 v21, v1, v14, -v21
	v_mul_f32_e32 v23, v23, v13
	s_delay_alu instid0(VALU_DEP_4)
	v_rcp_f32_e32 v27, v22
	v_dual_cndmask_b32 v2, v2, v15 :: v_dual_add_f32 v15, v9, v14
	v_mul_f32_e32 v29, v1, v26
	v_mul_f32_e32 v26, v16, v26
	v_div_scale_f32 v30, null, v17, v17, v23
	v_div_scale_f32 v35, vcc_lo, v18, v17, v18
	s_delay_alu instid0(VALU_DEP_3) | instskip(NEXT) | instid1(VALU_DEP_3)
	v_mul_f32_e32 v26, v1, v26
	v_rcp_f32_e32 v34, v30
	s_delay_alu instid0(TRANS32_DEP_2) | instskip(SKIP_1) | instid1(VALU_DEP_3)
	v_fma_f32 v33, -v22, v27, 1.0
	v_div_scale_f32 v36, s2, v23, v17, v23
	v_dual_mul_f32 v26, v26, v13 :: v_dual_mul_f32 v19, 0x40c00000, v19
	s_delay_alu instid0(VALU_DEP_3) | instskip(SKIP_3) | instid1(VALU_DEP_1)
	v_fmac_f32_e32 v27, v33, v27
	v_mul_f32_e32 v24, v1, v1
	s_waitcnt_depctr 0xfff
	v_fma_f32 v33, -v30, v34, 1.0
	v_dual_mul_f32 v21, v28, v21 :: v_dual_fmac_f32 v34, v33, v34
	v_mul_f32_e32 v29, v29, v13
	s_delay_alu instid0(VALU_DEP_2) | instskip(NEXT) | instid1(VALU_DEP_2)
	v_div_scale_f32 v33, null, v17, v17, v21
	v_dual_mul_f32 v20, v20, v29 :: v_dual_mul_f32 v29, v35, v27
	v_fma_f32 v31, -v1, v13, v24
	v_mul_f32_e32 v14, v24, v14
	s_delay_alu instid0(VALU_DEP_4) | instskip(NEXT) | instid1(VALU_DEP_3)
	v_rcp_f32_e32 v39, v33
	v_div_scale_f32 v28, null, v25, v25, v20
	v_fma_f32 v38, -v22, v29, v35
	v_mul_f32_e32 v32, v17, v25
	v_fmac_f32_e32 v31, v13, v13
	s_delay_alu instid0(VALU_DEP_4) | instskip(NEXT) | instid1(VALU_DEP_3)
	v_rcp_f32_e32 v37, v28
	v_dual_fmac_f32 v29, v38, v27 :: v_dual_mul_f32 v38, v36, v34
	s_delay_alu instid0(VALU_DEP_2) | instskip(SKIP_1) | instid1(VALU_DEP_3)
	v_mul_f32_e32 v26, v31, v26
	v_div_scale_f32 v31, s4, v21, v17, v21
	v_fma_f32 v22, -v22, v29, v35
	s_delay_alu instid0(VALU_DEP_4)
	v_fma_f32 v35, -v30, v38, v36
	s_waitcnt_depctr 0xfff
	v_fma_f32 v40, -v28, v37, 1.0
	v_fmac_f32_e32 v38, v35, v34
	v_div_fmas_f32 v22, v22, v27, v29
	v_mul_f32_e32 v27, v13, v13
	v_div_scale_f32 v24, null, v32, v32, v26
	v_fmac_f32_e32 v37, v40, v37
	s_delay_alu instid0(VALU_DEP_3) | instskip(NEXT) | instid1(VALU_DEP_3)
	v_dual_mul_f32 v13, v10, v13 :: v_dual_fmac_f32 v14, v9, v27
	v_rcp_f32_e32 v29, v24
	v_div_scale_f32 v9, s3, v20, v25, v20
	v_fma_f32 v27, -v33, v39, 1.0
	s_delay_alu instid0(VALU_DEP_3) | instskip(SKIP_1) | instid1(VALU_DEP_2)
	v_fma_f32 v1, v1, v12, -v13
	s_mov_b32 vcc_lo, s2
	v_fmac_f32_e32 v39, v27, v39
	s_waitcnt_depctr 0xfff
	v_fma_f32 v35, -v24, v29, 1.0
	s_delay_alu instid0(VALU_DEP_1) | instskip(NEXT) | instid1(VALU_DEP_1)
	v_dual_mul_f32 v16, 4.0, v16 :: v_dual_fmac_f32 v29, v35, v29
	v_dual_mul_f32 v14, v19, v14 :: v_dual_mul_f32 v1, v16, v1
	v_fma_f32 v19, -v30, v38, v36
	v_mul_f32_e32 v30, v9, v37
	v_div_scale_f32 v36, s2, v26, v32, v26
	s_delay_alu instid0(VALU_DEP_4) | instskip(NEXT) | instid1(VALU_DEP_3)
	v_div_scale_f32 v27, null, v25, v25, v14
	v_fma_f32 v16, -v28, v30, v9
	v_div_scale_f32 v35, null, v17, v17, v1
	s_delay_alu instid0(VALU_DEP_3) | instskip(SKIP_1) | instid1(VALU_DEP_3)
	v_rcp_f32_e32 v13, v27
	v_div_fmas_f32 v19, v19, v34, v38
	v_fmac_f32_e32 v30, v16, v37
	s_delay_alu instid0(VALU_DEP_3) | instskip(SKIP_2) | instid1(VALU_DEP_2)
	v_rcp_f32_e32 v40, v35
	v_dual_mul_f32 v34, v31, v39 :: v_dual_mul_f32 v41, v36, v29
	s_mov_b32 vcc_lo, s3
	v_fma_f32 v9, -v28, v30, v9
	v_add_f32_e32 v10, v10, v12
	s_delay_alu instid0(VALU_DEP_3) | instskip(NEXT) | instid1(TRANS32_DEP_2)
	v_fma_f32 v16, -v33, v34, v31
	v_fma_f32 v38, -v27, v13, 1.0
	v_fma_f32 v12, -v24, v41, v36
	v_div_fmas_f32 v9, v9, v37, v30
	s_delay_alu instid0(TRANS32_DEP_1) | instskip(NEXT) | instid1(VALU_DEP_4)
	v_fma_f32 v28, -v35, v40, 1.0
	v_dual_fmac_f32 v34, v16, v39 :: v_dual_fmac_f32 v13, v38, v13
	v_div_scale_f32 v38, s5, v14, v25, v14
	s_delay_alu instid0(VALU_DEP_4) | instskip(SKIP_3) | instid1(VALU_DEP_4)
	v_div_fixup_f32 v9, v9, v25, v20
	v_fmac_f32_e32 v41, v12, v29
	v_fmac_f32_e32 v40, v28, v40
	v_div_scale_f32 v28, s3, v1, v17, v1
	v_add_f32_e32 v9, v10, v9
	v_mul_f32_e32 v16, v38, v13
	v_fma_f32 v30, -v33, v34, v31
	s_delay_alu instid0(VALU_DEP_4)
	v_mul_f32_e32 v31, v28, v40
	v_fma_f32 v24, -v24, v41, v36
	s_mov_b32 vcc_lo, s4
	v_fma_f32 v12, -v27, v16, v38
	v_div_fmas_f32 v30, v30, v39, v34
	s_mov_b32 vcc_lo, s2
	s_delay_alu instid0(VALU_DEP_2) | instskip(SKIP_3) | instid1(VALU_DEP_3)
	v_fmac_f32_e32 v16, v12, v13
	v_div_fmas_f32 v12, v24, v29, v41
	v_fma_f32 v24, -v35, v31, v28
	s_mov_b32 vcc_lo, s5
	v_fma_f32 v11, -v27, v16, v38
	s_delay_alu instid0(VALU_DEP_3) | instskip(NEXT) | instid1(VALU_DEP_3)
	v_div_fixup_f32 v12, v12, v32, v26
	v_fmac_f32_e32 v31, v24, v40
	s_delay_alu instid0(VALU_DEP_3) | instskip(SKIP_1) | instid1(VALU_DEP_2)
	v_div_fmas_f32 v11, v11, v13, v16
	s_mov_b32 vcc_lo, s3
	v_fma_f32 v10, -v35, v31, v28
	v_div_fixup_f32 v13, v19, v17, v23
	v_add_f32_e32 v8, v8, v12
	v_div_fixup_f32 v11, v11, v25, v14
	v_div_fixup_f32 v12, v30, v17, v21
	v_div_fmas_f32 v10, v10, v40, v31
	v_add_f32_e32 v13, v15, v13
	v_div_fixup_f32 v14, v22, v17, v18
	v_add_f32_e32 v8, v11, v8
	v_cmp_lt_f32_e32 vcc_lo, v3, v7
	v_div_fixup_f32 v1, v10, v17, v1
	v_add_f32_e32 v10, v12, v9
	v_dual_add_f32 v4, v4, v14 :: v_dual_mov_b32 v9, v13
	v_cndmask_b32_e32 v3, v3, v7, vcc_lo
	s_delay_alu instid0(VALU_DEP_4)
	v_add_f32_e32 v11, v1, v8
	v_mov_b32_e32 v1, v17
.LBB16_68:
	s_or_b32 exec_lo, exec_lo, s7
	v_cmp_gt_u32_e32 vcc_lo, 30, v5
	v_add_nc_u32_e32 v17, 2, v5
	s_mov_b32 s7, exec_lo
	s_waitcnt lgkmcnt(4)
	v_cndmask_b32_e64 v7, 0, 1, vcc_lo
	s_delay_alu instid0(VALU_DEP_1) | instskip(SKIP_1) | instid1(VALU_DEP_1)
	v_lshlrev_b32_e32 v7, 1, v7
	s_waitcnt lgkmcnt(0)
	v_add_lshl_u32 v8, v7, v5, 2
	ds_bpermute_b32 v13, v8, v1
	ds_bpermute_b32 v15, v8, v2
	;; [unrolled: 1-line block ×7, first 2 shown]
	v_cmpx_lt_u32_e64 v17, v6
	s_cbranch_execz .LBB16_70
; %bb.69:
	s_waitcnt lgkmcnt(3)
	v_dual_sub_f32 v16, v16, v4 :: v_dual_add_f32 v17, v1, v13
	v_cmp_gt_f32_e32 vcc_lo, v2, v15
	s_waitcnt lgkmcnt(0)
	v_add_f32_e32 v8, v11, v8
	s_delay_alu instid0(VALU_DEP_3) | instskip(SKIP_3) | instid1(VALU_DEP_4)
	v_dual_sub_f32 v20, v1, v13 :: v_dual_mul_f32 v19, v16, v16
	v_mul_f32_e32 v18, v16, v13
	v_mul_f32_e32 v21, v9, v13
	v_dual_mul_f32 v25, v17, v17 :: v_dual_mul_f32 v28, 0x40400000, v16
	v_mul_f32_e32 v23, v1, v19
	s_delay_alu instid0(VALU_DEP_4) | instskip(SKIP_2) | instid1(VALU_DEP_4)
	v_div_scale_f32 v22, null, v17, v17, v18
	v_mul_f32_e32 v26, v16, v19
	v_fma_f32 v21, v1, v14, -v21
	v_mul_f32_e32 v23, v23, v13
	s_delay_alu instid0(VALU_DEP_4)
	v_rcp_f32_e32 v27, v22
	v_dual_cndmask_b32 v2, v2, v15 :: v_dual_add_f32 v15, v9, v14
	v_mul_f32_e32 v29, v1, v26
	v_mul_f32_e32 v26, v16, v26
	v_div_scale_f32 v30, null, v17, v17, v23
	v_div_scale_f32 v35, vcc_lo, v18, v17, v18
	s_delay_alu instid0(VALU_DEP_3) | instskip(NEXT) | instid1(VALU_DEP_3)
	v_mul_f32_e32 v26, v1, v26
	v_rcp_f32_e32 v34, v30
	s_delay_alu instid0(TRANS32_DEP_2) | instskip(SKIP_1) | instid1(VALU_DEP_3)
	v_fma_f32 v33, -v22, v27, 1.0
	v_div_scale_f32 v36, s2, v23, v17, v23
	v_dual_mul_f32 v26, v26, v13 :: v_dual_mul_f32 v19, 0x40c00000, v19
	s_delay_alu instid0(VALU_DEP_3) | instskip(SKIP_3) | instid1(VALU_DEP_1)
	v_fmac_f32_e32 v27, v33, v27
	v_mul_f32_e32 v24, v1, v1
	s_waitcnt_depctr 0xfff
	v_fma_f32 v33, -v30, v34, 1.0
	v_dual_mul_f32 v21, v28, v21 :: v_dual_fmac_f32 v34, v33, v34
	v_mul_f32_e32 v29, v29, v13
	s_delay_alu instid0(VALU_DEP_2) | instskip(NEXT) | instid1(VALU_DEP_2)
	v_div_scale_f32 v33, null, v17, v17, v21
	v_dual_mul_f32 v20, v20, v29 :: v_dual_mul_f32 v29, v35, v27
	v_fma_f32 v31, -v1, v13, v24
	v_mul_f32_e32 v14, v24, v14
	s_delay_alu instid0(VALU_DEP_4) | instskip(NEXT) | instid1(VALU_DEP_3)
	v_rcp_f32_e32 v39, v33
	v_div_scale_f32 v28, null, v25, v25, v20
	v_fma_f32 v38, -v22, v29, v35
	v_mul_f32_e32 v32, v17, v25
	v_fmac_f32_e32 v31, v13, v13
	s_delay_alu instid0(VALU_DEP_4) | instskip(NEXT) | instid1(VALU_DEP_3)
	v_rcp_f32_e32 v37, v28
	v_dual_fmac_f32 v29, v38, v27 :: v_dual_mul_f32 v38, v36, v34
	s_delay_alu instid0(VALU_DEP_2) | instskip(SKIP_1) | instid1(VALU_DEP_3)
	v_mul_f32_e32 v26, v31, v26
	v_div_scale_f32 v31, s4, v21, v17, v21
	v_fma_f32 v22, -v22, v29, v35
	s_delay_alu instid0(VALU_DEP_4)
	v_fma_f32 v35, -v30, v38, v36
	s_waitcnt_depctr 0xfff
	v_fma_f32 v40, -v28, v37, 1.0
	v_fmac_f32_e32 v38, v35, v34
	v_div_fmas_f32 v22, v22, v27, v29
	v_mul_f32_e32 v27, v13, v13
	v_div_scale_f32 v24, null, v32, v32, v26
	v_fmac_f32_e32 v37, v40, v37
	s_delay_alu instid0(VALU_DEP_3) | instskip(NEXT) | instid1(VALU_DEP_3)
	v_dual_mul_f32 v13, v10, v13 :: v_dual_fmac_f32 v14, v9, v27
	v_rcp_f32_e32 v29, v24
	v_div_scale_f32 v9, s3, v20, v25, v20
	v_fma_f32 v27, -v33, v39, 1.0
	s_delay_alu instid0(VALU_DEP_3) | instskip(SKIP_1) | instid1(VALU_DEP_2)
	v_fma_f32 v1, v1, v12, -v13
	s_mov_b32 vcc_lo, s2
	v_fmac_f32_e32 v39, v27, v39
	s_waitcnt_depctr 0xfff
	v_fma_f32 v35, -v24, v29, 1.0
	s_delay_alu instid0(VALU_DEP_1) | instskip(NEXT) | instid1(VALU_DEP_1)
	v_dual_mul_f32 v16, 4.0, v16 :: v_dual_fmac_f32 v29, v35, v29
	v_dual_mul_f32 v14, v19, v14 :: v_dual_mul_f32 v1, v16, v1
	v_fma_f32 v19, -v30, v38, v36
	v_mul_f32_e32 v30, v9, v37
	v_div_scale_f32 v36, s2, v26, v32, v26
	s_delay_alu instid0(VALU_DEP_4) | instskip(NEXT) | instid1(VALU_DEP_3)
	v_div_scale_f32 v27, null, v25, v25, v14
	v_fma_f32 v16, -v28, v30, v9
	v_div_scale_f32 v35, null, v17, v17, v1
	s_delay_alu instid0(VALU_DEP_3) | instskip(SKIP_1) | instid1(VALU_DEP_3)
	v_rcp_f32_e32 v13, v27
	v_div_fmas_f32 v19, v19, v34, v38
	v_fmac_f32_e32 v30, v16, v37
	s_delay_alu instid0(VALU_DEP_3) | instskip(SKIP_2) | instid1(VALU_DEP_2)
	v_rcp_f32_e32 v40, v35
	v_dual_mul_f32 v34, v31, v39 :: v_dual_mul_f32 v41, v36, v29
	s_mov_b32 vcc_lo, s3
	v_fma_f32 v9, -v28, v30, v9
	v_add_f32_e32 v10, v10, v12
	s_delay_alu instid0(VALU_DEP_3) | instskip(NEXT) | instid1(TRANS32_DEP_2)
	v_fma_f32 v16, -v33, v34, v31
	v_fma_f32 v38, -v27, v13, 1.0
	v_fma_f32 v12, -v24, v41, v36
	v_div_fmas_f32 v9, v9, v37, v30
	s_delay_alu instid0(TRANS32_DEP_1) | instskip(NEXT) | instid1(VALU_DEP_4)
	v_fma_f32 v28, -v35, v40, 1.0
	v_dual_fmac_f32 v34, v16, v39 :: v_dual_fmac_f32 v13, v38, v13
	v_div_scale_f32 v38, s5, v14, v25, v14
	s_delay_alu instid0(VALU_DEP_4) | instskip(SKIP_3) | instid1(VALU_DEP_4)
	v_div_fixup_f32 v9, v9, v25, v20
	v_fmac_f32_e32 v41, v12, v29
	v_fmac_f32_e32 v40, v28, v40
	v_div_scale_f32 v28, s3, v1, v17, v1
	v_add_f32_e32 v9, v10, v9
	v_mul_f32_e32 v16, v38, v13
	v_fma_f32 v30, -v33, v34, v31
	s_delay_alu instid0(VALU_DEP_4)
	v_mul_f32_e32 v31, v28, v40
	v_fma_f32 v24, -v24, v41, v36
	s_mov_b32 vcc_lo, s4
	v_fma_f32 v12, -v27, v16, v38
	v_div_fmas_f32 v30, v30, v39, v34
	s_mov_b32 vcc_lo, s2
	s_delay_alu instid0(VALU_DEP_2) | instskip(SKIP_3) | instid1(VALU_DEP_3)
	v_fmac_f32_e32 v16, v12, v13
	v_div_fmas_f32 v12, v24, v29, v41
	v_fma_f32 v24, -v35, v31, v28
	s_mov_b32 vcc_lo, s5
	v_fma_f32 v11, -v27, v16, v38
	s_delay_alu instid0(VALU_DEP_3) | instskip(NEXT) | instid1(VALU_DEP_3)
	v_div_fixup_f32 v12, v12, v32, v26
	v_fmac_f32_e32 v31, v24, v40
	s_delay_alu instid0(VALU_DEP_3) | instskip(SKIP_1) | instid1(VALU_DEP_2)
	v_div_fmas_f32 v11, v11, v13, v16
	s_mov_b32 vcc_lo, s3
	v_fma_f32 v10, -v35, v31, v28
	v_div_fixup_f32 v13, v19, v17, v23
	v_add_f32_e32 v8, v8, v12
	v_div_fixup_f32 v11, v11, v25, v14
	v_div_fixup_f32 v12, v30, v17, v21
	v_div_fmas_f32 v10, v10, v40, v31
	v_add_f32_e32 v13, v15, v13
	v_div_fixup_f32 v14, v22, v17, v18
	v_add_f32_e32 v8, v11, v8
	v_cmp_lt_f32_e32 vcc_lo, v3, v7
	v_div_fixup_f32 v1, v10, v17, v1
	v_add_f32_e32 v10, v12, v9
	v_dual_add_f32 v4, v4, v14 :: v_dual_mov_b32 v9, v13
	v_cndmask_b32_e32 v3, v3, v7, vcc_lo
	s_delay_alu instid0(VALU_DEP_4)
	v_add_f32_e32 v11, v1, v8
	v_mov_b32_e32 v1, v17
.LBB16_70:
	s_or_b32 exec_lo, exec_lo, s7
	v_cmp_gt_u32_e32 vcc_lo, 28, v5
	v_add_nc_u32_e32 v17, 4, v5
	s_mov_b32 s7, exec_lo
	s_waitcnt lgkmcnt(4)
	v_cndmask_b32_e64 v7, 0, 1, vcc_lo
	s_delay_alu instid0(VALU_DEP_1) | instskip(SKIP_1) | instid1(VALU_DEP_1)
	v_lshlrev_b32_e32 v7, 2, v7
	s_waitcnt lgkmcnt(0)
	v_add_lshl_u32 v8, v7, v5, 2
	ds_bpermute_b32 v13, v8, v1
	ds_bpermute_b32 v15, v8, v2
	ds_bpermute_b32 v7, v8, v3
	ds_bpermute_b32 v16, v8, v4
	ds_bpermute_b32 v14, v8, v9
	ds_bpermute_b32 v12, v8, v10
	ds_bpermute_b32 v8, v8, v11
	v_cmpx_lt_u32_e64 v17, v6
	s_cbranch_execz .LBB16_72
; %bb.71:
	s_waitcnt lgkmcnt(3)
	v_dual_sub_f32 v16, v16, v4 :: v_dual_add_f32 v17, v1, v13
	v_cmp_gt_f32_e32 vcc_lo, v2, v15
	s_waitcnt lgkmcnt(0)
	v_add_f32_e32 v8, v11, v8
	s_delay_alu instid0(VALU_DEP_3) | instskip(SKIP_3) | instid1(VALU_DEP_4)
	v_dual_sub_f32 v20, v1, v13 :: v_dual_mul_f32 v19, v16, v16
	v_mul_f32_e32 v18, v16, v13
	v_mul_f32_e32 v21, v9, v13
	v_dual_mul_f32 v25, v17, v17 :: v_dual_mul_f32 v28, 0x40400000, v16
	v_mul_f32_e32 v23, v1, v19
	s_delay_alu instid0(VALU_DEP_4) | instskip(SKIP_2) | instid1(VALU_DEP_4)
	v_div_scale_f32 v22, null, v17, v17, v18
	v_mul_f32_e32 v26, v16, v19
	v_fma_f32 v21, v1, v14, -v21
	v_mul_f32_e32 v23, v23, v13
	s_delay_alu instid0(VALU_DEP_4)
	v_rcp_f32_e32 v27, v22
	v_dual_cndmask_b32 v2, v2, v15 :: v_dual_add_f32 v15, v9, v14
	v_mul_f32_e32 v29, v1, v26
	v_mul_f32_e32 v26, v16, v26
	v_div_scale_f32 v30, null, v17, v17, v23
	v_div_scale_f32 v35, vcc_lo, v18, v17, v18
	s_delay_alu instid0(VALU_DEP_3) | instskip(NEXT) | instid1(VALU_DEP_3)
	v_mul_f32_e32 v26, v1, v26
	v_rcp_f32_e32 v34, v30
	s_delay_alu instid0(TRANS32_DEP_2) | instskip(SKIP_1) | instid1(VALU_DEP_3)
	v_fma_f32 v33, -v22, v27, 1.0
	v_div_scale_f32 v36, s2, v23, v17, v23
	v_dual_mul_f32 v26, v26, v13 :: v_dual_mul_f32 v19, 0x40c00000, v19
	s_delay_alu instid0(VALU_DEP_3) | instskip(SKIP_3) | instid1(VALU_DEP_1)
	v_fmac_f32_e32 v27, v33, v27
	v_mul_f32_e32 v24, v1, v1
	s_waitcnt_depctr 0xfff
	v_fma_f32 v33, -v30, v34, 1.0
	v_dual_mul_f32 v21, v28, v21 :: v_dual_fmac_f32 v34, v33, v34
	v_mul_f32_e32 v29, v29, v13
	s_delay_alu instid0(VALU_DEP_2) | instskip(NEXT) | instid1(VALU_DEP_2)
	v_div_scale_f32 v33, null, v17, v17, v21
	v_dual_mul_f32 v20, v20, v29 :: v_dual_mul_f32 v29, v35, v27
	v_fma_f32 v31, -v1, v13, v24
	v_mul_f32_e32 v14, v24, v14
	s_delay_alu instid0(VALU_DEP_4) | instskip(NEXT) | instid1(VALU_DEP_3)
	v_rcp_f32_e32 v39, v33
	v_div_scale_f32 v28, null, v25, v25, v20
	v_fma_f32 v38, -v22, v29, v35
	v_mul_f32_e32 v32, v17, v25
	v_fmac_f32_e32 v31, v13, v13
	s_delay_alu instid0(VALU_DEP_4) | instskip(NEXT) | instid1(VALU_DEP_3)
	v_rcp_f32_e32 v37, v28
	v_dual_fmac_f32 v29, v38, v27 :: v_dual_mul_f32 v38, v36, v34
	s_delay_alu instid0(VALU_DEP_2) | instskip(SKIP_1) | instid1(VALU_DEP_3)
	v_mul_f32_e32 v26, v31, v26
	v_div_scale_f32 v31, s4, v21, v17, v21
	v_fma_f32 v22, -v22, v29, v35
	s_delay_alu instid0(VALU_DEP_4)
	v_fma_f32 v35, -v30, v38, v36
	s_waitcnt_depctr 0xfff
	v_fma_f32 v40, -v28, v37, 1.0
	v_fmac_f32_e32 v38, v35, v34
	v_div_fmas_f32 v22, v22, v27, v29
	v_mul_f32_e32 v27, v13, v13
	v_div_scale_f32 v24, null, v32, v32, v26
	v_fmac_f32_e32 v37, v40, v37
	s_delay_alu instid0(VALU_DEP_3) | instskip(NEXT) | instid1(VALU_DEP_3)
	v_dual_mul_f32 v13, v10, v13 :: v_dual_fmac_f32 v14, v9, v27
	v_rcp_f32_e32 v29, v24
	v_div_scale_f32 v9, s3, v20, v25, v20
	v_fma_f32 v27, -v33, v39, 1.0
	s_delay_alu instid0(VALU_DEP_3) | instskip(SKIP_1) | instid1(VALU_DEP_2)
	v_fma_f32 v1, v1, v12, -v13
	s_mov_b32 vcc_lo, s2
	v_fmac_f32_e32 v39, v27, v39
	s_waitcnt_depctr 0xfff
	v_fma_f32 v35, -v24, v29, 1.0
	s_delay_alu instid0(VALU_DEP_1) | instskip(NEXT) | instid1(VALU_DEP_1)
	v_dual_mul_f32 v16, 4.0, v16 :: v_dual_fmac_f32 v29, v35, v29
	v_dual_mul_f32 v14, v19, v14 :: v_dual_mul_f32 v1, v16, v1
	v_fma_f32 v19, -v30, v38, v36
	v_mul_f32_e32 v30, v9, v37
	v_div_scale_f32 v36, s2, v26, v32, v26
	s_delay_alu instid0(VALU_DEP_4) | instskip(NEXT) | instid1(VALU_DEP_3)
	v_div_scale_f32 v27, null, v25, v25, v14
	v_fma_f32 v16, -v28, v30, v9
	v_div_scale_f32 v35, null, v17, v17, v1
	s_delay_alu instid0(VALU_DEP_3) | instskip(SKIP_1) | instid1(VALU_DEP_3)
	v_rcp_f32_e32 v13, v27
	v_div_fmas_f32 v19, v19, v34, v38
	v_fmac_f32_e32 v30, v16, v37
	s_delay_alu instid0(VALU_DEP_3) | instskip(SKIP_2) | instid1(VALU_DEP_2)
	v_rcp_f32_e32 v40, v35
	v_dual_mul_f32 v34, v31, v39 :: v_dual_mul_f32 v41, v36, v29
	s_mov_b32 vcc_lo, s3
	v_fma_f32 v9, -v28, v30, v9
	v_add_f32_e32 v10, v10, v12
	s_delay_alu instid0(VALU_DEP_3) | instskip(NEXT) | instid1(TRANS32_DEP_2)
	v_fma_f32 v16, -v33, v34, v31
	v_fma_f32 v38, -v27, v13, 1.0
	v_fma_f32 v12, -v24, v41, v36
	v_div_fmas_f32 v9, v9, v37, v30
	s_delay_alu instid0(TRANS32_DEP_1) | instskip(NEXT) | instid1(VALU_DEP_4)
	v_fma_f32 v28, -v35, v40, 1.0
	v_dual_fmac_f32 v34, v16, v39 :: v_dual_fmac_f32 v13, v38, v13
	v_div_scale_f32 v38, s5, v14, v25, v14
	s_delay_alu instid0(VALU_DEP_4) | instskip(SKIP_3) | instid1(VALU_DEP_4)
	v_div_fixup_f32 v9, v9, v25, v20
	v_fmac_f32_e32 v41, v12, v29
	v_fmac_f32_e32 v40, v28, v40
	v_div_scale_f32 v28, s3, v1, v17, v1
	v_add_f32_e32 v9, v10, v9
	v_mul_f32_e32 v16, v38, v13
	v_fma_f32 v30, -v33, v34, v31
	s_delay_alu instid0(VALU_DEP_4)
	v_mul_f32_e32 v31, v28, v40
	v_fma_f32 v24, -v24, v41, v36
	s_mov_b32 vcc_lo, s4
	v_fma_f32 v12, -v27, v16, v38
	v_div_fmas_f32 v30, v30, v39, v34
	s_mov_b32 vcc_lo, s2
	s_delay_alu instid0(VALU_DEP_2) | instskip(SKIP_3) | instid1(VALU_DEP_3)
	v_fmac_f32_e32 v16, v12, v13
	v_div_fmas_f32 v12, v24, v29, v41
	v_fma_f32 v24, -v35, v31, v28
	s_mov_b32 vcc_lo, s5
	v_fma_f32 v11, -v27, v16, v38
	s_delay_alu instid0(VALU_DEP_3) | instskip(NEXT) | instid1(VALU_DEP_3)
	v_div_fixup_f32 v12, v12, v32, v26
	v_fmac_f32_e32 v31, v24, v40
	s_delay_alu instid0(VALU_DEP_3) | instskip(SKIP_1) | instid1(VALU_DEP_2)
	v_div_fmas_f32 v11, v11, v13, v16
	s_mov_b32 vcc_lo, s3
	v_fma_f32 v10, -v35, v31, v28
	v_div_fixup_f32 v13, v19, v17, v23
	v_add_f32_e32 v8, v8, v12
	v_div_fixup_f32 v11, v11, v25, v14
	v_div_fixup_f32 v12, v30, v17, v21
	v_div_fmas_f32 v10, v10, v40, v31
	v_add_f32_e32 v13, v15, v13
	v_div_fixup_f32 v14, v22, v17, v18
	v_add_f32_e32 v8, v11, v8
	v_cmp_lt_f32_e32 vcc_lo, v3, v7
	v_div_fixup_f32 v1, v10, v17, v1
	v_add_f32_e32 v10, v12, v9
	v_dual_add_f32 v4, v4, v14 :: v_dual_mov_b32 v9, v13
	v_cndmask_b32_e32 v3, v3, v7, vcc_lo
	s_delay_alu instid0(VALU_DEP_4)
	v_add_f32_e32 v11, v1, v8
	v_mov_b32_e32 v1, v17
.LBB16_72:
	s_or_b32 exec_lo, exec_lo, s7
	v_cmp_gt_u32_e32 vcc_lo, 24, v5
	v_add_nc_u32_e32 v17, 8, v5
	s_mov_b32 s7, exec_lo
	s_waitcnt lgkmcnt(4)
	v_cndmask_b32_e64 v7, 0, 1, vcc_lo
	s_delay_alu instid0(VALU_DEP_1) | instskip(SKIP_1) | instid1(VALU_DEP_1)
	v_lshlrev_b32_e32 v7, 3, v7
	s_waitcnt lgkmcnt(0)
	v_add_lshl_u32 v8, v7, v5, 2
	ds_bpermute_b32 v13, v8, v1
	ds_bpermute_b32 v15, v8, v2
	;; [unrolled: 1-line block ×7, first 2 shown]
	v_cmpx_lt_u32_e64 v17, v6
	s_cbranch_execz .LBB16_74
; %bb.73:
	s_waitcnt lgkmcnt(3)
	v_dual_sub_f32 v16, v16, v4 :: v_dual_add_f32 v17, v1, v13
	v_cmp_gt_f32_e32 vcc_lo, v2, v15
	s_waitcnt lgkmcnt(0)
	v_add_f32_e32 v8, v11, v8
	s_delay_alu instid0(VALU_DEP_3) | instskip(SKIP_3) | instid1(VALU_DEP_4)
	v_dual_sub_f32 v20, v1, v13 :: v_dual_mul_f32 v19, v16, v16
	v_mul_f32_e32 v18, v16, v13
	v_mul_f32_e32 v21, v9, v13
	v_dual_mul_f32 v25, v17, v17 :: v_dual_mul_f32 v28, 0x40400000, v16
	v_mul_f32_e32 v23, v1, v19
	s_delay_alu instid0(VALU_DEP_4) | instskip(SKIP_2) | instid1(VALU_DEP_4)
	v_div_scale_f32 v22, null, v17, v17, v18
	v_mul_f32_e32 v26, v16, v19
	v_fma_f32 v21, v1, v14, -v21
	v_mul_f32_e32 v23, v23, v13
	s_delay_alu instid0(VALU_DEP_4)
	v_rcp_f32_e32 v27, v22
	v_dual_cndmask_b32 v2, v2, v15 :: v_dual_add_f32 v15, v9, v14
	v_mul_f32_e32 v29, v1, v26
	v_mul_f32_e32 v26, v16, v26
	v_div_scale_f32 v30, null, v17, v17, v23
	v_div_scale_f32 v35, vcc_lo, v18, v17, v18
	s_delay_alu instid0(VALU_DEP_3) | instskip(NEXT) | instid1(VALU_DEP_3)
	v_mul_f32_e32 v26, v1, v26
	v_rcp_f32_e32 v34, v30
	s_delay_alu instid0(TRANS32_DEP_2) | instskip(SKIP_1) | instid1(VALU_DEP_3)
	v_fma_f32 v33, -v22, v27, 1.0
	v_div_scale_f32 v36, s2, v23, v17, v23
	v_dual_mul_f32 v26, v26, v13 :: v_dual_mul_f32 v19, 0x40c00000, v19
	s_delay_alu instid0(VALU_DEP_3) | instskip(SKIP_3) | instid1(VALU_DEP_1)
	v_fmac_f32_e32 v27, v33, v27
	v_mul_f32_e32 v24, v1, v1
	s_waitcnt_depctr 0xfff
	v_fma_f32 v33, -v30, v34, 1.0
	v_dual_mul_f32 v21, v28, v21 :: v_dual_fmac_f32 v34, v33, v34
	v_mul_f32_e32 v29, v29, v13
	s_delay_alu instid0(VALU_DEP_2) | instskip(NEXT) | instid1(VALU_DEP_2)
	v_div_scale_f32 v33, null, v17, v17, v21
	v_dual_mul_f32 v20, v20, v29 :: v_dual_mul_f32 v29, v35, v27
	v_fma_f32 v31, -v1, v13, v24
	v_mul_f32_e32 v14, v24, v14
	s_delay_alu instid0(VALU_DEP_4) | instskip(NEXT) | instid1(VALU_DEP_3)
	v_rcp_f32_e32 v39, v33
	v_div_scale_f32 v28, null, v25, v25, v20
	v_fma_f32 v38, -v22, v29, v35
	v_mul_f32_e32 v32, v17, v25
	v_fmac_f32_e32 v31, v13, v13
	s_delay_alu instid0(VALU_DEP_4) | instskip(NEXT) | instid1(VALU_DEP_3)
	v_rcp_f32_e32 v37, v28
	v_dual_fmac_f32 v29, v38, v27 :: v_dual_mul_f32 v38, v36, v34
	s_delay_alu instid0(VALU_DEP_2) | instskip(SKIP_1) | instid1(VALU_DEP_3)
	v_mul_f32_e32 v26, v31, v26
	v_div_scale_f32 v31, s4, v21, v17, v21
	v_fma_f32 v22, -v22, v29, v35
	s_delay_alu instid0(VALU_DEP_4)
	v_fma_f32 v35, -v30, v38, v36
	s_waitcnt_depctr 0xfff
	v_fma_f32 v40, -v28, v37, 1.0
	v_fmac_f32_e32 v38, v35, v34
	v_div_fmas_f32 v22, v22, v27, v29
	v_mul_f32_e32 v27, v13, v13
	v_div_scale_f32 v24, null, v32, v32, v26
	v_fmac_f32_e32 v37, v40, v37
	s_delay_alu instid0(VALU_DEP_3) | instskip(NEXT) | instid1(VALU_DEP_3)
	v_dual_mul_f32 v13, v10, v13 :: v_dual_fmac_f32 v14, v9, v27
	v_rcp_f32_e32 v29, v24
	v_div_scale_f32 v9, s3, v20, v25, v20
	v_fma_f32 v27, -v33, v39, 1.0
	s_delay_alu instid0(VALU_DEP_3) | instskip(SKIP_1) | instid1(VALU_DEP_2)
	v_fma_f32 v1, v1, v12, -v13
	s_mov_b32 vcc_lo, s2
	v_fmac_f32_e32 v39, v27, v39
	s_waitcnt_depctr 0xfff
	v_fma_f32 v35, -v24, v29, 1.0
	s_delay_alu instid0(VALU_DEP_1) | instskip(NEXT) | instid1(VALU_DEP_1)
	v_dual_mul_f32 v16, 4.0, v16 :: v_dual_fmac_f32 v29, v35, v29
	v_dual_mul_f32 v14, v19, v14 :: v_dual_mul_f32 v1, v16, v1
	v_fma_f32 v19, -v30, v38, v36
	v_mul_f32_e32 v30, v9, v37
	v_div_scale_f32 v36, s2, v26, v32, v26
	s_delay_alu instid0(VALU_DEP_4) | instskip(NEXT) | instid1(VALU_DEP_3)
	v_div_scale_f32 v27, null, v25, v25, v14
	v_fma_f32 v16, -v28, v30, v9
	v_div_scale_f32 v35, null, v17, v17, v1
	s_delay_alu instid0(VALU_DEP_3) | instskip(SKIP_1) | instid1(VALU_DEP_3)
	v_rcp_f32_e32 v13, v27
	v_div_fmas_f32 v19, v19, v34, v38
	v_fmac_f32_e32 v30, v16, v37
	s_delay_alu instid0(VALU_DEP_3) | instskip(SKIP_2) | instid1(VALU_DEP_2)
	v_rcp_f32_e32 v40, v35
	v_dual_mul_f32 v34, v31, v39 :: v_dual_mul_f32 v41, v36, v29
	s_mov_b32 vcc_lo, s3
	v_fma_f32 v9, -v28, v30, v9
	v_add_f32_e32 v10, v10, v12
	s_delay_alu instid0(VALU_DEP_3) | instskip(NEXT) | instid1(TRANS32_DEP_2)
	v_fma_f32 v16, -v33, v34, v31
	v_fma_f32 v38, -v27, v13, 1.0
	v_fma_f32 v12, -v24, v41, v36
	v_div_fmas_f32 v9, v9, v37, v30
	s_delay_alu instid0(TRANS32_DEP_1) | instskip(NEXT) | instid1(VALU_DEP_4)
	v_fma_f32 v28, -v35, v40, 1.0
	v_dual_fmac_f32 v34, v16, v39 :: v_dual_fmac_f32 v13, v38, v13
	v_div_scale_f32 v38, s5, v14, v25, v14
	s_delay_alu instid0(VALU_DEP_4) | instskip(SKIP_3) | instid1(VALU_DEP_4)
	v_div_fixup_f32 v9, v9, v25, v20
	v_fmac_f32_e32 v41, v12, v29
	v_fmac_f32_e32 v40, v28, v40
	v_div_scale_f32 v28, s3, v1, v17, v1
	v_add_f32_e32 v9, v10, v9
	v_mul_f32_e32 v16, v38, v13
	v_fma_f32 v30, -v33, v34, v31
	s_delay_alu instid0(VALU_DEP_4)
	v_mul_f32_e32 v31, v28, v40
	v_fma_f32 v24, -v24, v41, v36
	s_mov_b32 vcc_lo, s4
	v_fma_f32 v12, -v27, v16, v38
	v_div_fmas_f32 v30, v30, v39, v34
	s_mov_b32 vcc_lo, s2
	s_delay_alu instid0(VALU_DEP_2) | instskip(SKIP_3) | instid1(VALU_DEP_3)
	v_fmac_f32_e32 v16, v12, v13
	v_div_fmas_f32 v12, v24, v29, v41
	v_fma_f32 v24, -v35, v31, v28
	s_mov_b32 vcc_lo, s5
	v_fma_f32 v11, -v27, v16, v38
	s_delay_alu instid0(VALU_DEP_3) | instskip(NEXT) | instid1(VALU_DEP_3)
	v_div_fixup_f32 v12, v12, v32, v26
	v_fmac_f32_e32 v31, v24, v40
	s_delay_alu instid0(VALU_DEP_3) | instskip(SKIP_1) | instid1(VALU_DEP_2)
	v_div_fmas_f32 v11, v11, v13, v16
	s_mov_b32 vcc_lo, s3
	v_fma_f32 v10, -v35, v31, v28
	v_div_fixup_f32 v13, v19, v17, v23
	v_add_f32_e32 v8, v8, v12
	v_div_fixup_f32 v11, v11, v25, v14
	v_div_fixup_f32 v12, v30, v17, v21
	v_div_fmas_f32 v10, v10, v40, v31
	v_add_f32_e32 v13, v15, v13
	v_div_fixup_f32 v14, v22, v17, v18
	v_add_f32_e32 v8, v11, v8
	v_cmp_lt_f32_e32 vcc_lo, v3, v7
	v_div_fixup_f32 v1, v10, v17, v1
	v_add_f32_e32 v10, v12, v9
	v_dual_add_f32 v4, v4, v14 :: v_dual_mov_b32 v9, v13
	v_cndmask_b32_e32 v3, v3, v7, vcc_lo
	s_delay_alu instid0(VALU_DEP_4)
	v_add_f32_e32 v11, v1, v8
	v_mov_b32_e32 v1, v17
.LBB16_74:
	s_or_b32 exec_lo, exec_lo, s7
	v_cmp_gt_u32_e32 vcc_lo, 16, v5
	v_add_nc_u32_e32 v17, 16, v5
	s_mov_b32 s7, exec_lo
	s_waitcnt lgkmcnt(4)
	v_cndmask_b32_e64 v7, 0, 1, vcc_lo
	s_delay_alu instid0(VALU_DEP_1) | instskip(SKIP_1) | instid1(VALU_DEP_1)
	v_lshlrev_b32_e32 v7, 4, v7
	s_waitcnt lgkmcnt(0)
	v_add_lshl_u32 v8, v7, v5, 2
	ds_bpermute_b32 v13, v8, v1
	ds_bpermute_b32 v15, v8, v2
	;; [unrolled: 1-line block ×7, first 2 shown]
	v_cmpx_lt_u32_e64 v17, v6
	s_cbranch_execz .LBB16_76
; %bb.75:
	s_waitcnt lgkmcnt(3)
	v_sub_f32_e32 v6, v16, v4
	v_cmp_gt_f32_e32 vcc_lo, v2, v15
	s_waitcnt lgkmcnt(0)
	v_dual_add_f32 v8, v11, v8 :: v_dual_mul_f32 v23, v1, v1
	v_dual_sub_f32 v19, v1, v13 :: v_dual_cndmask_b32 v2, v2, v15
	v_add_f32_e32 v15, v9, v14
	v_mul_f32_e32 v18, v6, v6
	v_add_f32_e32 v16, v1, v13
	v_mul_f32_e32 v17, v6, v13
	v_dual_mul_f32 v20, v9, v13 :: v_dual_mul_f32 v27, 0x40400000, v6
	s_delay_alu instid0(VALU_DEP_4) | instskip(SKIP_1) | instid1(VALU_DEP_4)
	v_mul_f32_e32 v22, v1, v18
	v_mul_f32_e32 v25, v6, v18
	v_div_scale_f32 v21, null, v16, v16, v17
	v_mul_f32_e32 v24, v16, v16
	v_div_scale_f32 v34, vcc_lo, v17, v16, v17
	s_delay_alu instid0(VALU_DEP_3) | instskip(SKIP_4) | instid1(VALU_DEP_4)
	v_rcp_f32_e32 v26, v21
	v_mul_f32_e32 v28, v1, v25
	v_mul_f32_e32 v25, v6, v25
	v_dual_mul_f32 v22, v22, v13 :: v_dual_mul_f32 v31, v16, v24
	v_fma_f32 v20, v1, v14, -v20
	v_mul_f32_e32 v28, v28, v13
	v_fma_f32 v30, -v1, v13, v23
	s_delay_alu instid0(VALU_DEP_4) | instskip(NEXT) | instid1(TRANS32_DEP_1)
	v_div_scale_f32 v29, null, v16, v16, v22
	v_fma_f32 v32, -v21, v26, 1.0
	s_delay_alu instid0(VALU_DEP_4) | instskip(SKIP_1) | instid1(VALU_DEP_4)
	v_mul_f32_e32 v19, v19, v28
	v_div_scale_f32 v35, s2, v22, v16, v22
	v_rcp_f32_e32 v33, v29
	s_delay_alu instid0(VALU_DEP_3) | instskip(SKIP_3) | instid1(VALU_DEP_4)
	v_dual_fmac_f32 v26, v32, v26 :: v_dual_mul_f32 v25, v1, v25
	v_mul_f32_e32 v18, 0x40c00000, v18
	v_mul_f32_e32 v6, 4.0, v6
	v_mul_f32_e32 v14, v23, v14
	v_dual_mul_f32 v28, v34, v26 :: v_dual_mul_f32 v25, v25, v13
	s_waitcnt_depctr 0xfff
	v_fma_f32 v32, -v29, v33, 1.0
	v_mul_f32_e32 v20, v27, v20
	v_div_scale_f32 v27, null, v24, v24, v19
	v_fma_f32 v37, -v21, v28, v34
	s_delay_alu instid0(VALU_DEP_4) | instskip(NEXT) | instid1(VALU_DEP_4)
	v_fmac_f32_e32 v33, v32, v33
	v_div_scale_f32 v32, null, v16, v16, v20
	s_delay_alu instid0(VALU_DEP_4) | instskip(NEXT) | instid1(VALU_DEP_2)
	v_rcp_f32_e32 v36, v27
	v_dual_fmac_f32 v28, v37, v26 :: v_dual_mul_f32 v37, v35, v33
	s_delay_alu instid0(VALU_DEP_2) | instskip(NEXT) | instid1(VALU_DEP_1)
	v_rcp_f32_e32 v38, v32
	v_fma_f32 v21, -v21, v28, v34
	s_delay_alu instid0(VALU_DEP_2)
	v_fma_f32 v34, -v29, v37, v35
	s_waitcnt_depctr 0xfff
	v_fma_f32 v39, -v27, v36, 1.0
	v_div_fmas_f32 v21, v21, v26, v28
	v_mul_f32_e32 v26, v13, v13
	v_fmac_f32_e32 v37, v34, v33
	s_mov_b32 vcc_lo, s2
	v_fmac_f32_e32 v36, v39, v36
	s_delay_alu instid0(VALU_DEP_3) | instskip(SKIP_2) | instid1(VALU_DEP_3)
	v_fmac_f32_e32 v14, v9, v26
	v_div_scale_f32 v9, s3, v19, v24, v19
	v_fma_f32 v26, -v32, v38, 1.0
	v_mul_f32_e32 v14, v18, v14
	v_fma_f32 v18, -v29, v37, v35
	s_delay_alu instid0(VALU_DEP_4)
	v_mul_f32_e32 v29, v9, v36
	v_fmac_f32_e32 v30, v13, v13
	v_mul_f32_e32 v13, v10, v13
	v_add_f32_e32 v10, v10, v12
	v_div_fmas_f32 v18, v18, v33, v37
	s_mov_b32 vcc_lo, s3
	s_delay_alu instid0(VALU_DEP_3) | instskip(NEXT) | instid1(VALU_DEP_1)
	v_fma_f32 v1, v1, v12, -v13
	v_mul_f32_e32 v1, v6, v1
	v_fma_f32 v6, -v27, v29, v9
	s_delay_alu instid0(VALU_DEP_1) | instskip(SKIP_2) | instid1(VALU_DEP_3)
	v_fmac_f32_e32 v29, v6, v36
	v_mul_f32_e32 v25, v30, v25
	v_div_scale_f32 v30, s4, v20, v16, v20
	v_fma_f32 v9, -v27, v29, v9
	s_delay_alu instid0(VALU_DEP_3) | instskip(SKIP_1) | instid1(VALU_DEP_3)
	v_div_scale_f32 v23, null, v31, v31, v25
	v_div_scale_f32 v35, s2, v25, v31, v25
	v_div_fmas_f32 v9, v9, v36, v29
	s_delay_alu instid0(VALU_DEP_3) | instskip(SKIP_1) | instid1(VALU_DEP_1)
	v_rcp_f32_e32 v28, v23
	s_mov_b32 vcc_lo, s4
	v_div_fixup_f32 v9, v9, v24, v19
	s_delay_alu instid0(VALU_DEP_1) | instskip(SKIP_2) | instid1(VALU_DEP_1)
	v_add_f32_e32 v9, v10, v9
	s_waitcnt_depctr 0xfff
	v_fma_f32 v34, -v23, v28, 1.0
	v_fmac_f32_e32 v28, v34, v28
	v_div_scale_f32 v34, null, v16, v16, v1
	s_delay_alu instid0(VALU_DEP_2) | instskip(NEXT) | instid1(VALU_DEP_2)
	v_mul_f32_e32 v40, v35, v28
	v_rcp_f32_e32 v39, v34
	s_waitcnt_depctr 0xfff
	v_fma_f32 v27, -v34, v39, 1.0
	v_fmac_f32_e32 v38, v26, v38
	v_div_scale_f32 v26, null, v24, v24, v14
	s_delay_alu instid0(VALU_DEP_3) | instskip(NEXT) | instid1(VALU_DEP_3)
	v_fmac_f32_e32 v39, v27, v39
	v_mul_f32_e32 v33, v30, v38
	s_delay_alu instid0(VALU_DEP_3) | instskip(SKIP_1) | instid1(VALU_DEP_2)
	v_rcp_f32_e32 v13, v26
	v_div_scale_f32 v27, s3, v1, v16, v1
	v_fma_f32 v6, -v32, v33, v30
	s_delay_alu instid0(VALU_DEP_1) | instskip(SKIP_4) | instid1(VALU_DEP_3)
	v_fmac_f32_e32 v33, v6, v38
	s_waitcnt_depctr 0xfff
	v_fma_f32 v37, -v26, v13, 1.0
	v_fma_f32 v6, -v23, v40, v35
	v_fma_f32 v29, -v32, v33, v30
	v_fmac_f32_e32 v13, v37, v13
	v_div_scale_f32 v37, s5, v14, v24, v14
	s_delay_alu instid0(VALU_DEP_4) | instskip(SKIP_2) | instid1(VALU_DEP_4)
	v_fmac_f32_e32 v40, v6, v28
	v_mul_f32_e32 v30, v27, v39
	v_div_fmas_f32 v29, v29, v38, v33
	v_mul_f32_e32 v12, v37, v13
	s_mov_b32 vcc_lo, s2
	v_fma_f32 v23, -v23, v40, v35
	s_delay_alu instid0(VALU_DEP_2) | instskip(NEXT) | instid1(VALU_DEP_1)
	v_fma_f32 v6, -v26, v12, v37
	v_fmac_f32_e32 v12, v6, v13
	s_delay_alu instid0(VALU_DEP_3) | instskip(SKIP_2) | instid1(VALU_DEP_3)
	v_div_fmas_f32 v6, v23, v28, v40
	v_fma_f32 v23, -v34, v30, v27
	s_mov_b32 vcc_lo, s5
	v_fma_f32 v11, -v26, v12, v37
	s_delay_alu instid0(VALU_DEP_3) | instskip(NEXT) | instid1(VALU_DEP_3)
	v_div_fixup_f32 v6, v6, v31, v25
	v_fmac_f32_e32 v30, v23, v39
	s_delay_alu instid0(VALU_DEP_3) | instskip(SKIP_1) | instid1(VALU_DEP_2)
	v_div_fmas_f32 v11, v11, v13, v12
	s_mov_b32 vcc_lo, s3
	v_fma_f32 v10, -v34, v30, v27
	v_div_fixup_f32 v12, v18, v16, v22
	v_add_f32_e32 v6, v8, v6
	v_div_fixup_f32 v8, v11, v24, v14
	v_div_fixup_f32 v11, v29, v16, v20
	v_div_fmas_f32 v10, v10, v39, v30
	v_div_fixup_f32 v13, v21, v16, v17
	v_add_f32_e32 v12, v15, v12
	v_add_f32_e32 v6, v8, v6
	v_cmp_lt_f32_e32 vcc_lo, v3, v7
	v_div_fixup_f32 v1, v10, v16, v1
	v_add_f32_e32 v10, v11, v9
	v_add_f32_e32 v4, v4, v13
	v_mov_b32_e32 v9, v12
	v_cndmask_b32_e32 v3, v3, v7, vcc_lo
	v_add_f32_e32 v11, v1, v6
	v_mov_b32_e32 v1, v16
.LBB16_76:
	s_or_b32 exec_lo, exec_lo, s7
	s_delay_alu instid0(SALU_CYCLE_1)
	s_mov_b32 s2, exec_lo
	v_cmpx_eq_u32_e32 0, v5
	s_cbranch_execz .LBB16_78
; %bb.77:
	v_lshrrev_b32_e32 v6, 5, v0
	s_delay_alu instid0(VALU_DEP_1)
	v_mul_u32_u24_e32 v6, 28, v6
	ds_store_2addr_b32 v6, v1, v2 offset1:1
	ds_store_2addr_b32 v6, v3, v4 offset0:2 offset1:3
	ds_store_2addr_b32 v6, v9, v10 offset0:4 offset1:5
	ds_store_b32 v6, v11 offset:24
.LBB16_78:
	s_or_b32 exec_lo, exec_lo, s2
	s_delay_alu instid0(SALU_CYCLE_1)
	s_mov_b32 s7, exec_lo
	s_waitcnt lgkmcnt(0)
	s_barrier
	buffer_gl0_inv
	v_cmpx_gt_u32_e32 8, v0
	s_cbranch_execz .LBB16_86
; %bb.79:
	v_mul_u32_u24_e32 v7, 28, v5
	s_add_i32 s6, s6, 31
	ds_load_2addr_b32 v[1:2], v7 offset1:1
	ds_load_2addr_b32 v[3:4], v7 offset0:2 offset1:3
	ds_load_2addr_b32 v[9:10], v7 offset0:4 offset1:5
	ds_load_b32 v11, v7 offset:24
	v_and_b32_e32 v6, 7, v5
	s_lshr_b32 s6, s6, 5
	s_waitcnt lgkmcnt(1)
	v_mov_b32_e32 v17, v10
	s_delay_alu instid0(VALU_DEP_2) | instskip(SKIP_2) | instid1(VALU_DEP_1)
	v_cmp_ne_u32_e32 vcc_lo, 7, v6
	v_mov_b32_e32 v16, v9
	v_add_co_ci_u32_e32 v7, vcc_lo, 0, v5, vcc_lo
	v_lshlrev_b32_e32 v7, 2, v7
	ds_bpermute_b32 v14, v7, v1
	ds_bpermute_b32 v18, v7, v2
	;; [unrolled: 1-line block ×6, first 2 shown]
	s_waitcnt lgkmcnt(6)
	ds_bpermute_b32 v12, v7, v11
	v_add_nc_u32_e32 v7, 1, v6
	s_delay_alu instid0(VALU_DEP_1)
	v_cmp_gt_u32_e32 vcc_lo, s6, v7
	v_mov_b32_e32 v7, v1
	s_and_saveexec_b32 s8, vcc_lo
	s_cbranch_execz .LBB16_81
; %bb.80:
	s_waitcnt lgkmcnt(3)
	v_dual_sub_f32 v16, v19, v4 :: v_dual_add_f32 v7, v1, v14
	v_cmp_gt_f32_e32 vcc_lo, v2, v18
	v_mul_f32_e32 v24, v1, v1
	s_delay_alu instid0(VALU_DEP_3) | instskip(SKIP_3) | instid1(VALU_DEP_3)
	v_dual_sub_f32 v20, v1, v14 :: v_dual_mul_f32 v19, v16, v16
	v_mul_f32_e32 v21, v9, v14
	s_waitcnt lgkmcnt(2)
	v_dual_cndmask_b32 v2, v2, v18 :: v_dual_add_f32 v17, v9, v15
	v_dual_mul_f32 v18, v16, v14 :: v_dual_mul_f32 v23, v1, v19
	v_mul_f32_e32 v26, v16, v19
	v_mul_f32_e32 v25, v7, v7
	v_fma_f32 v21, v1, v15, -v21
	s_delay_alu instid0(VALU_DEP_4) | instskip(SKIP_1) | instid1(VALU_DEP_4)
	v_div_scale_f32 v22, null, v7, v7, v18
	v_dual_mul_f32 v23, v23, v14 :: v_dual_mul_f32 v28, 0x40400000, v16
	v_dual_mul_f32 v29, v1, v26 :: v_dual_mul_f32 v32, v7, v25
	s_delay_alu instid0(VALU_DEP_3) | instskip(NEXT) | instid1(VALU_DEP_2)
	v_rcp_f32_e32 v27, v22
	v_div_scale_f32 v30, null, v7, v7, v23
	s_delay_alu instid0(VALU_DEP_2) | instskip(SKIP_1) | instid1(VALU_DEP_3)
	v_mul_f32_e32 v29, v29, v14
	v_div_scale_f32 v35, vcc_lo, v18, v7, v18
	v_rcp_f32_e32 v34, v30
	v_mul_f32_e32 v26, v16, v26
	v_mul_f32_e32 v16, 4.0, v16
	v_div_scale_f32 v36, s2, v23, v7, v23
	s_delay_alu instid0(TRANS32_DEP_2)
	v_fma_f32 v33, -v22, v27, 1.0
	v_mul_f32_e32 v20, v20, v29
	v_fma_f32 v31, -v1, v14, v24
	v_mul_f32_e32 v15, v24, v15
	v_mul_f32_e32 v19, 0x40c00000, v19
	v_fmac_f32_e32 v27, v33, v27
	v_fma_f32 v33, -v30, v34, 1.0
	v_mul_f32_e32 v21, v28, v21
	v_div_scale_f32 v28, null, v25, v25, v20
	s_delay_alu instid0(VALU_DEP_3) | instskip(NEXT) | instid1(VALU_DEP_3)
	v_dual_mul_f32 v29, v35, v27 :: v_dual_fmac_f32 v34, v33, v34
	v_div_scale_f32 v33, null, v7, v7, v21
	s_delay_alu instid0(VALU_DEP_3) | instskip(NEXT) | instid1(VALU_DEP_2)
	v_rcp_f32_e32 v37, v28
	v_fma_f32 v38, -v22, v29, v35
	v_mul_f32_e32 v26, v1, v26
	s_delay_alu instid0(VALU_DEP_3) | instskip(SKIP_4) | instid1(TRANS32_DEP_2)
	v_rcp_f32_e32 v39, v33
	s_waitcnt lgkmcnt(0)
	v_add_f32_e32 v11, v11, v12
	v_dual_fmac_f32 v29, v38, v27 :: v_dual_mul_f32 v38, v36, v34
	v_mul_f32_e32 v26, v26, v14
	v_fma_f32 v40, -v28, v37, 1.0
	s_delay_alu instid0(VALU_DEP_3) | instskip(NEXT) | instid1(VALU_DEP_4)
	v_fma_f32 v22, -v22, v29, v35
	v_fma_f32 v35, -v30, v38, v36
	s_delay_alu instid0(VALU_DEP_3) | instskip(NEXT) | instid1(VALU_DEP_3)
	v_fmac_f32_e32 v37, v40, v37
	v_div_fmas_f32 v22, v22, v27, v29
	v_mul_f32_e32 v27, v14, v14
	s_delay_alu instid0(VALU_DEP_4) | instskip(SKIP_1) | instid1(VALU_DEP_2)
	v_fmac_f32_e32 v38, v35, v34
	s_mov_b32 vcc_lo, s2
	v_fmac_f32_e32 v15, v9, v27
	v_div_scale_f32 v9, s3, v20, v25, v20
	v_fmac_f32_e32 v31, v14, v14
	s_delay_alu instid0(VALU_DEP_3) | instskip(SKIP_1) | instid1(VALU_DEP_4)
	v_dual_mul_f32 v14, v10, v14 :: v_dual_mul_f32 v15, v19, v15
	v_fma_f32 v19, -v30, v38, v36
	v_mul_f32_e32 v30, v9, v37
	v_fma_f32 v27, -v33, v39, 1.0
	s_delay_alu instid0(VALU_DEP_4) | instskip(SKIP_2) | instid1(VALU_DEP_4)
	v_fma_f32 v1, v1, v13, -v14
	v_mul_f32_e32 v26, v31, v26
	v_div_scale_f32 v31, s4, v21, v7, v21
	v_fmac_f32_e32 v39, v27, v39
	s_delay_alu instid0(VALU_DEP_4) | instskip(SKIP_4) | instid1(VALU_DEP_4)
	v_mul_f32_e32 v1, v16, v1
	v_fma_f32 v16, -v28, v30, v9
	v_div_scale_f32 v24, null, v32, v32, v26
	v_div_fmas_f32 v19, v19, v34, v38
	v_div_scale_f32 v36, s2, v26, v32, v26
	v_fmac_f32_e32 v30, v16, v37
	v_div_scale_f32 v27, null, v25, v25, v15
	v_rcp_f32_e32 v29, v24
	s_mov_b32 vcc_lo, s3
	s_delay_alu instid0(VALU_DEP_2) | instskip(NEXT) | instid1(VALU_DEP_2)
	v_fma_f32 v9, -v28, v30, v9
	v_rcp_f32_e32 v14, v27
	s_delay_alu instid0(VALU_DEP_1)
	v_div_fmas_f32 v9, v9, v37, v30
	s_mov_b32 vcc_lo, s4
	s_waitcnt_depctr 0xfff
	v_fma_f32 v35, -v24, v29, 1.0
	v_div_fixup_f32 v9, v9, v25, v20
	v_fma_f32 v38, -v27, v14, 1.0
	s_delay_alu instid0(VALU_DEP_1) | instskip(SKIP_2) | instid1(VALU_DEP_2)
	v_fmac_f32_e32 v14, v38, v14
	v_mul_f32_e32 v34, v31, v39
	v_div_scale_f32 v38, s5, v15, v25, v15
	v_fma_f32 v16, -v33, v34, v31
	v_fmac_f32_e32 v29, v35, v29
	v_div_scale_f32 v35, null, v7, v7, v1
	s_delay_alu instid0(VALU_DEP_3) | instskip(NEXT) | instid1(VALU_DEP_3)
	v_fmac_f32_e32 v34, v16, v39
	v_dual_mul_f32 v41, v36, v29 :: v_dual_mul_f32 v16, v38, v14
	s_delay_alu instid0(VALU_DEP_3) | instskip(NEXT) | instid1(VALU_DEP_2)
	v_rcp_f32_e32 v40, v35
	v_fma_f32 v30, -v33, v34, v31
	s_delay_alu instid0(VALU_DEP_1) | instskip(SKIP_3) | instid1(VALU_DEP_1)
	v_div_fmas_f32 v30, v30, v39, v34
	s_mov_b32 vcc_lo, s2
	s_waitcnt_depctr 0xfff
	v_fma_f32 v28, -v35, v40, 1.0
	v_fmac_f32_e32 v40, v28, v40
	v_div_scale_f32 v28, s3, v1, v7, v1
	v_add_f32_e32 v10, v10, v13
	v_fma_f32 v13, -v24, v41, v36
	s_delay_alu instid0(VALU_DEP_3) | instskip(NEXT) | instid1(VALU_DEP_3)
	v_mul_f32_e32 v31, v28, v40
	v_add_f32_e32 v9, v10, v9
	s_delay_alu instid0(VALU_DEP_3) | instskip(SKIP_1) | instid1(VALU_DEP_2)
	v_fmac_f32_e32 v41, v13, v29
	v_fma_f32 v13, -v27, v16, v38
	v_fma_f32 v24, -v24, v41, v36
	s_delay_alu instid0(VALU_DEP_2) | instskip(NEXT) | instid1(VALU_DEP_2)
	v_fmac_f32_e32 v16, v13, v14
	v_div_fmas_f32 v13, v24, v29, v41
	v_fma_f32 v24, -v35, v31, v28
	s_delay_alu instid0(VALU_DEP_3) | instskip(SKIP_1) | instid1(VALU_DEP_3)
	v_fma_f32 v12, -v27, v16, v38
	s_mov_b32 vcc_lo, s5
	v_div_fixup_f32 v13, v13, v32, v26
	s_delay_alu instid0(VALU_DEP_2) | instskip(SKIP_2) | instid1(VALU_DEP_4)
	v_div_fmas_f32 v12, v12, v14, v16
	v_div_fixup_f32 v14, v19, v7, v23
	v_fmac_f32_e32 v31, v24, v40
	v_add_f32_e32 v11, v11, v13
	v_div_fixup_f32 v13, v30, v7, v21
	s_mov_b32 vcc_lo, s3
	v_add_f32_e32 v16, v17, v14
	v_fma_f32 v10, -v35, v31, v28
	v_div_fixup_f32 v12, v12, v25, v15
	v_add_f32_e32 v17, v13, v9
	v_div_fixup_f32 v15, v22, v7, v18
	v_mov_b32_e32 v9, v16
	v_div_fmas_f32 v10, v10, v40, v31
	v_cmp_lt_f32_e32 vcc_lo, v3, v8
	s_delay_alu instid0(VALU_DEP_4) | instskip(NEXT) | instid1(VALU_DEP_3)
	v_add_f32_e32 v4, v4, v15
	v_div_fixup_f32 v1, v10, v7, v1
	v_dual_mov_b32 v10, v17 :: v_dual_add_f32 v11, v12, v11
	v_cndmask_b32_e32 v3, v3, v8, vcc_lo
	s_delay_alu instid0(VALU_DEP_2)
	v_add_f32_e32 v11, v1, v11
	v_mov_b32_e32 v1, v7
.LBB16_81:
	s_or_b32 exec_lo, exec_lo, s8
	v_cmp_gt_u32_e32 vcc_lo, 6, v6
	v_add_nc_u32_e32 v20, 2, v6
	s_mov_b32 s8, exec_lo
	s_waitcnt lgkmcnt(4)
	v_cndmask_b32_e64 v8, 0, 1, vcc_lo
	s_delay_alu instid0(VALU_DEP_1) | instskip(SKIP_1) | instid1(VALU_DEP_1)
	v_lshlrev_b32_e32 v8, 1, v8
	s_waitcnt lgkmcnt(0)
	v_add_lshl_u32 v12, v8, v5, 2
	ds_bpermute_b32 v14, v12, v7
	ds_bpermute_b32 v18, v12, v2
	;; [unrolled: 1-line block ×7, first 2 shown]
	v_cmpx_gt_u32_e64 s6, v20
	s_cbranch_execz .LBB16_83
; %bb.82:
	s_waitcnt lgkmcnt(3)
	v_dual_sub_f32 v16, v19, v4 :: v_dual_add_f32 v7, v1, v14
	v_cmp_gt_f32_e32 vcc_lo, v2, v18
	v_mul_f32_e32 v24, v1, v1
	s_delay_alu instid0(VALU_DEP_3) | instskip(SKIP_3) | instid1(VALU_DEP_3)
	v_dual_sub_f32 v20, v1, v14 :: v_dual_mul_f32 v19, v16, v16
	v_mul_f32_e32 v21, v9, v14
	s_waitcnt lgkmcnt(2)
	v_dual_cndmask_b32 v2, v2, v18 :: v_dual_add_f32 v17, v9, v15
	v_dual_mul_f32 v18, v16, v14 :: v_dual_mul_f32 v23, v1, v19
	v_mul_f32_e32 v26, v16, v19
	v_mul_f32_e32 v25, v7, v7
	v_fma_f32 v21, v1, v15, -v21
	s_delay_alu instid0(VALU_DEP_4) | instskip(SKIP_1) | instid1(VALU_DEP_4)
	v_div_scale_f32 v22, null, v7, v7, v18
	v_dual_mul_f32 v23, v23, v14 :: v_dual_mul_f32 v28, 0x40400000, v16
	v_dual_mul_f32 v29, v1, v26 :: v_dual_mul_f32 v32, v7, v25
	s_delay_alu instid0(VALU_DEP_3) | instskip(NEXT) | instid1(VALU_DEP_2)
	v_rcp_f32_e32 v27, v22
	v_div_scale_f32 v30, null, v7, v7, v23
	s_delay_alu instid0(VALU_DEP_2) | instskip(SKIP_1) | instid1(VALU_DEP_3)
	v_mul_f32_e32 v29, v29, v14
	v_div_scale_f32 v35, vcc_lo, v18, v7, v18
	v_rcp_f32_e32 v34, v30
	v_mul_f32_e32 v26, v16, v26
	v_mul_f32_e32 v16, 4.0, v16
	v_div_scale_f32 v36, s2, v23, v7, v23
	s_delay_alu instid0(TRANS32_DEP_2)
	v_fma_f32 v33, -v22, v27, 1.0
	v_mul_f32_e32 v20, v20, v29
	v_fma_f32 v31, -v1, v14, v24
	v_mul_f32_e32 v15, v24, v15
	v_mul_f32_e32 v19, 0x40c00000, v19
	v_fmac_f32_e32 v27, v33, v27
	v_fma_f32 v33, -v30, v34, 1.0
	v_mul_f32_e32 v21, v28, v21
	v_div_scale_f32 v28, null, v25, v25, v20
	s_delay_alu instid0(VALU_DEP_3) | instskip(NEXT) | instid1(VALU_DEP_3)
	v_dual_mul_f32 v29, v35, v27 :: v_dual_fmac_f32 v34, v33, v34
	v_div_scale_f32 v33, null, v7, v7, v21
	s_delay_alu instid0(VALU_DEP_3) | instskip(NEXT) | instid1(VALU_DEP_2)
	v_rcp_f32_e32 v37, v28
	v_fma_f32 v38, -v22, v29, v35
	v_mul_f32_e32 v26, v1, v26
	s_delay_alu instid0(VALU_DEP_3) | instskip(SKIP_4) | instid1(TRANS32_DEP_2)
	v_rcp_f32_e32 v39, v33
	s_waitcnt lgkmcnt(0)
	v_add_f32_e32 v11, v11, v12
	v_dual_fmac_f32 v29, v38, v27 :: v_dual_mul_f32 v38, v36, v34
	v_mul_f32_e32 v26, v26, v14
	v_fma_f32 v40, -v28, v37, 1.0
	s_delay_alu instid0(VALU_DEP_3) | instskip(NEXT) | instid1(VALU_DEP_4)
	v_fma_f32 v22, -v22, v29, v35
	v_fma_f32 v35, -v30, v38, v36
	s_delay_alu instid0(VALU_DEP_3) | instskip(NEXT) | instid1(VALU_DEP_3)
	v_fmac_f32_e32 v37, v40, v37
	v_div_fmas_f32 v22, v22, v27, v29
	v_mul_f32_e32 v27, v14, v14
	s_delay_alu instid0(VALU_DEP_4) | instskip(SKIP_1) | instid1(VALU_DEP_2)
	v_fmac_f32_e32 v38, v35, v34
	s_mov_b32 vcc_lo, s2
	v_fmac_f32_e32 v15, v9, v27
	v_div_scale_f32 v9, s3, v20, v25, v20
	v_fmac_f32_e32 v31, v14, v14
	s_delay_alu instid0(VALU_DEP_3) | instskip(SKIP_1) | instid1(VALU_DEP_4)
	v_dual_mul_f32 v14, v10, v14 :: v_dual_mul_f32 v15, v19, v15
	v_fma_f32 v19, -v30, v38, v36
	v_mul_f32_e32 v30, v9, v37
	v_fma_f32 v27, -v33, v39, 1.0
	s_delay_alu instid0(VALU_DEP_4) | instskip(SKIP_2) | instid1(VALU_DEP_4)
	v_fma_f32 v1, v1, v13, -v14
	v_mul_f32_e32 v26, v31, v26
	v_div_scale_f32 v31, s4, v21, v7, v21
	v_fmac_f32_e32 v39, v27, v39
	s_delay_alu instid0(VALU_DEP_4) | instskip(SKIP_4) | instid1(VALU_DEP_4)
	v_mul_f32_e32 v1, v16, v1
	v_fma_f32 v16, -v28, v30, v9
	v_div_scale_f32 v24, null, v32, v32, v26
	v_div_fmas_f32 v19, v19, v34, v38
	v_div_scale_f32 v36, s2, v26, v32, v26
	v_fmac_f32_e32 v30, v16, v37
	v_div_scale_f32 v27, null, v25, v25, v15
	v_rcp_f32_e32 v29, v24
	s_mov_b32 vcc_lo, s3
	s_delay_alu instid0(VALU_DEP_2) | instskip(NEXT) | instid1(VALU_DEP_2)
	v_fma_f32 v9, -v28, v30, v9
	v_rcp_f32_e32 v14, v27
	s_delay_alu instid0(VALU_DEP_1)
	v_div_fmas_f32 v9, v9, v37, v30
	s_mov_b32 vcc_lo, s4
	s_waitcnt_depctr 0xfff
	v_fma_f32 v35, -v24, v29, 1.0
	v_div_fixup_f32 v9, v9, v25, v20
	v_fma_f32 v38, -v27, v14, 1.0
	s_delay_alu instid0(VALU_DEP_1) | instskip(SKIP_2) | instid1(VALU_DEP_2)
	v_fmac_f32_e32 v14, v38, v14
	v_mul_f32_e32 v34, v31, v39
	v_div_scale_f32 v38, s5, v15, v25, v15
	v_fma_f32 v16, -v33, v34, v31
	v_fmac_f32_e32 v29, v35, v29
	v_div_scale_f32 v35, null, v7, v7, v1
	s_delay_alu instid0(VALU_DEP_3) | instskip(NEXT) | instid1(VALU_DEP_3)
	v_fmac_f32_e32 v34, v16, v39
	v_dual_mul_f32 v41, v36, v29 :: v_dual_mul_f32 v16, v38, v14
	s_delay_alu instid0(VALU_DEP_3) | instskip(NEXT) | instid1(VALU_DEP_2)
	v_rcp_f32_e32 v40, v35
	v_fma_f32 v30, -v33, v34, v31
	s_delay_alu instid0(VALU_DEP_1) | instskip(SKIP_3) | instid1(VALU_DEP_1)
	v_div_fmas_f32 v30, v30, v39, v34
	s_mov_b32 vcc_lo, s2
	s_waitcnt_depctr 0xfff
	v_fma_f32 v28, -v35, v40, 1.0
	v_fmac_f32_e32 v40, v28, v40
	v_div_scale_f32 v28, s3, v1, v7, v1
	v_add_f32_e32 v10, v10, v13
	v_fma_f32 v13, -v24, v41, v36
	s_delay_alu instid0(VALU_DEP_3) | instskip(NEXT) | instid1(VALU_DEP_3)
	v_mul_f32_e32 v31, v28, v40
	v_add_f32_e32 v9, v10, v9
	s_delay_alu instid0(VALU_DEP_3) | instskip(SKIP_1) | instid1(VALU_DEP_2)
	v_fmac_f32_e32 v41, v13, v29
	v_fma_f32 v13, -v27, v16, v38
	v_fma_f32 v24, -v24, v41, v36
	s_delay_alu instid0(VALU_DEP_2) | instskip(NEXT) | instid1(VALU_DEP_2)
	v_fmac_f32_e32 v16, v13, v14
	v_div_fmas_f32 v13, v24, v29, v41
	v_fma_f32 v24, -v35, v31, v28
	s_delay_alu instid0(VALU_DEP_3) | instskip(SKIP_1) | instid1(VALU_DEP_3)
	v_fma_f32 v12, -v27, v16, v38
	s_mov_b32 vcc_lo, s5
	v_div_fixup_f32 v13, v13, v32, v26
	s_delay_alu instid0(VALU_DEP_2) | instskip(SKIP_2) | instid1(VALU_DEP_4)
	v_div_fmas_f32 v12, v12, v14, v16
	v_div_fixup_f32 v14, v19, v7, v23
	v_fmac_f32_e32 v31, v24, v40
	v_add_f32_e32 v11, v11, v13
	v_div_fixup_f32 v13, v30, v7, v21
	s_mov_b32 vcc_lo, s3
	v_add_f32_e32 v16, v17, v14
	v_fma_f32 v10, -v35, v31, v28
	v_div_fixup_f32 v12, v12, v25, v15
	v_add_f32_e32 v17, v13, v9
	v_div_fixup_f32 v15, v22, v7, v18
	v_mov_b32_e32 v9, v16
	v_div_fmas_f32 v10, v10, v40, v31
	v_cmp_lt_f32_e32 vcc_lo, v3, v8
	s_delay_alu instid0(VALU_DEP_4) | instskip(NEXT) | instid1(VALU_DEP_3)
	v_add_f32_e32 v4, v4, v15
	v_div_fixup_f32 v1, v10, v7, v1
	v_dual_mov_b32 v10, v17 :: v_dual_add_f32 v11, v12, v11
	v_cndmask_b32_e32 v3, v3, v8, vcc_lo
	s_delay_alu instid0(VALU_DEP_2)
	v_add_f32_e32 v11, v1, v11
	v_mov_b32_e32 v1, v7
.LBB16_83:
	s_or_b32 exec_lo, exec_lo, s8
	v_cmp_gt_u32_e32 vcc_lo, 4, v6
	v_add_nc_u32_e32 v6, 4, v6
	s_mov_b32 s8, exec_lo
	s_waitcnt lgkmcnt(4)
	v_cndmask_b32_e64 v8, 0, 1, vcc_lo
	s_delay_alu instid0(VALU_DEP_1) | instskip(SKIP_1) | instid1(VALU_DEP_1)
	v_lshlrev_b32_e32 v8, 2, v8
	s_waitcnt lgkmcnt(0)
	v_add_lshl_u32 v12, v8, v5, 2
	ds_bpermute_b32 v13, v12, v7
	ds_bpermute_b32 v14, v12, v2
	;; [unrolled: 1-line block ×7, first 2 shown]
	v_cmpx_gt_u32_e64 s6, v6
	s_cbranch_execz .LBB16_85
; %bb.84:
	s_waitcnt lgkmcnt(3)
	v_dual_sub_f32 v6, v15, v4 :: v_dual_add_f32 v15, v1, v13
	v_cmp_gt_f32_e32 vcc_lo, v2, v14
	v_mul_f32_e32 v20, v1, v1
	v_mul_f32_e32 v17, v9, v13
	s_delay_alu instid0(VALU_DEP_4)
	v_mul_f32_e32 v25, 0x40400000, v6
	v_dual_mul_f32 v21, v15, v15 :: v_dual_cndmask_b32 v2, v2, v14
	v_mul_f32_e32 v14, v6, v13
	v_fma_f32 v27, -v1, v13, v20
	s_waitcnt lgkmcnt(2)
	v_fma_f32 v17, v1, v8, -v17
	v_mul_f32_e32 v18, v6, v6
	v_div_scale_f32 v19, null, v15, v15, v14
	s_delay_alu instid0(VALU_DEP_3) | instskip(NEXT) | instid1(VALU_DEP_3)
	v_mul_f32_e32 v17, v25, v17
	v_dual_sub_f32 v16, v1, v13 :: v_dual_mul_f32 v23, v6, v18
	s_delay_alu instid0(VALU_DEP_3) | instskip(SKIP_2) | instid1(VALU_DEP_3)
	v_rcp_f32_e32 v24, v19
	v_mul_f32_e32 v22, v1, v18
	v_div_scale_f32 v31, vcc_lo, v14, v15, v14
	v_mul_f32_e32 v26, v1, v23
	v_mul_f32_e32 v23, v6, v23
	s_delay_alu instid0(VALU_DEP_4) | instskip(SKIP_2) | instid1(TRANS32_DEP_1)
	v_mul_f32_e32 v22, v22, v13
	v_mul_f32_e32 v6, 4.0, v6
	v_dual_mul_f32 v18, 0x40c00000, v18 :: v_dual_fmac_f32 v27, v13, v13
	v_fma_f32 v30, -v19, v24, 1.0
	v_mul_f32_e32 v23, v1, v23
	v_div_scale_f32 v29, null, v15, v15, v22
	v_div_scale_f32 v36, s2, v22, v15, v22
	s_delay_alu instid0(VALU_DEP_3) | instskip(SKIP_1) | instid1(VALU_DEP_4)
	v_dual_fmac_f32 v24, v30, v24 :: v_dual_mul_f32 v23, v23, v13
	v_mul_f32_e32 v26, v26, v13
	v_rcp_f32_e32 v32, v29
	v_div_scale_f32 v30, null, v15, v15, v17
	s_delay_alu instid0(VALU_DEP_2) | instskip(SKIP_1) | instid1(VALU_DEP_1)
	v_dual_mul_f32 v23, v27, v23 :: v_dual_mul_f32 v16, v16, v26
	v_mul_f32_e32 v26, v31, v24
	v_fma_f32 v35, -v19, v26, v31
	s_waitcnt_depctr 0xfff
	v_fma_f32 v33, -v29, v32, 1.0
	v_fmac_f32_e32 v26, v35, v24
	s_delay_alu instid0(VALU_DEP_2) | instskip(SKIP_1) | instid1(VALU_DEP_2)
	v_fmac_f32_e32 v32, v33, v32
	v_rcp_f32_e32 v33, v30
	v_fma_f32 v19, -v19, v26, v31
	v_mul_f32_e32 v31, v13, v13
	v_div_scale_f32 v25, null, v21, v21, v16
	v_mul_f32_e32 v13, v10, v13
	s_delay_alu instid0(VALU_DEP_4) | instskip(SKIP_1) | instid1(VALU_DEP_3)
	v_div_fmas_f32 v19, v19, v24, v26
	s_mov_b32 vcc_lo, s2
	v_rcp_f32_e32 v34, v25
	s_delay_alu instid0(TRANS32_DEP_2)
	v_fma_f32 v27, -v30, v33, 1.0
	s_waitcnt lgkmcnt(1)
	v_fma_f32 v1, v1, v7, -v13
	v_mul_f32_e32 v20, v20, v8
	v_div_fixup_f32 v14, v19, v15, v14
	v_div_scale_f32 v19, s3, v16, v21, v16
	s_delay_alu instid0(VALU_DEP_3)
	v_dual_mul_f32 v1, v6, v1 :: v_dual_fmac_f32 v20, v9, v31
	v_fmac_f32_e32 v33, v27, v33
	v_dual_mul_f32 v28, v15, v21 :: v_dual_mul_f32 v35, v36, v32
	v_fma_f32 v37, -v25, v34, 1.0
	v_add_f32_e32 v8, v9, v8
	s_waitcnt lgkmcnt(0)
	v_add_f32_e32 v9, v11, v12
	v_div_scale_f32 v24, null, v28, v28, v23
	v_fma_f32 v26, -v29, v35, v36
	v_fmac_f32_e32 v34, v37, v34
	v_mul_f32_e32 v18, v18, v20
	s_delay_alu instid0(VALU_DEP_4) | instskip(SKIP_1) | instid1(VALU_DEP_3)
	v_rcp_f32_e32 v31, v24
	v_add_f32_e32 v7, v10, v7
	v_dual_fmac_f32 v35, v26, v32 :: v_dual_mul_f32 v20, v19, v34
	s_delay_alu instid0(VALU_DEP_3) | instskip(SKIP_1) | instid1(VALU_DEP_3)
	v_div_scale_f32 v26, null, v21, v21, v18
	v_div_scale_f32 v27, s4, v17, v15, v17
	v_fma_f32 v13, -v29, v35, v36
	s_delay_alu instid0(VALU_DEP_3) | instskip(SKIP_1) | instid1(TRANS32_DEP_2)
	v_rcp_f32_e32 v38, v26
	v_fma_f32 v29, -v25, v20, v19
	v_fma_f32 v37, -v24, v31, 1.0
	v_div_scale_f32 v6, s5, v23, v28, v23
	v_div_fmas_f32 v13, v13, v32, v35
	s_delay_alu instid0(VALU_DEP_4) | instskip(NEXT) | instid1(VALU_DEP_4)
	v_fmac_f32_e32 v20, v29, v34
	v_fmac_f32_e32 v31, v37, v31
	s_mov_b32 vcc_lo, s3
	v_div_scale_f32 v41, s6, v18, v21, v18
	s_delay_alu instid0(TRANS32_DEP_1) | instskip(SKIP_3) | instid1(VALU_DEP_4)
	v_fma_f32 v37, -v26, v38, 1.0
	v_fma_f32 v19, -v25, v20, v19
	v_div_scale_f32 v39, null, v15, v15, v1
	v_add_f32_e32 v4, v4, v14
	v_fmac_f32_e32 v38, v37, v38
	v_mul_f32_e32 v36, v27, v33
	v_div_fmas_f32 v19, v19, v34, v20
	v_rcp_f32_e32 v37, v39
	s_mov_b32 vcc_lo, s4
	s_delay_alu instid0(VALU_DEP_2) | instskip(NEXT) | instid1(VALU_DEP_2)
	v_fma_f32 v29, -v30, v36, v27
	v_div_fixup_f32 v10, v19, v21, v16
	v_mul_f32_e32 v40, v6, v31
	s_delay_alu instid0(VALU_DEP_2) | instskip(NEXT) | instid1(VALU_DEP_2)
	v_dual_fmac_f32 v36, v29, v33 :: v_dual_add_f32 v7, v7, v10
	v_fma_f32 v25, -v24, v40, v6
	v_mul_f32_e32 v29, v41, v38
	s_delay_alu instid0(TRANS32_DEP_1) | instskip(NEXT) | instid1(VALU_DEP_4)
	v_fma_f32 v32, -v39, v37, 1.0
	v_fma_f32 v20, -v30, v36, v27
	v_div_scale_f32 v27, s2, v1, v15, v1
	v_fmac_f32_e32 v40, v25, v31
	v_fma_f32 v25, -v26, v29, v41
	s_delay_alu instid0(VALU_DEP_4)
	v_div_fmas_f32 v20, v20, v33, v36
	s_mov_b32 vcc_lo, s5
	v_fmac_f32_e32 v37, v32, v37
	v_fma_f32 v6, -v24, v40, v6
	v_fmac_f32_e32 v29, v25, v38
	v_div_fixup_f32 v10, v20, v15, v17
	s_delay_alu instid0(VALU_DEP_3) | instskip(NEXT) | instid1(VALU_DEP_3)
	v_div_fmas_f32 v6, v6, v31, v40
	v_fma_f32 v11, -v26, v29, v41
	s_mov_b32 vcc_lo, s6
	s_delay_alu instid0(VALU_DEP_3) | instskip(NEXT) | instid1(VALU_DEP_3)
	v_add_f32_e32 v10, v10, v7
	v_div_fixup_f32 v6, v6, v28, v23
	s_delay_alu instid0(VALU_DEP_3) | instskip(SKIP_1) | instid1(VALU_DEP_2)
	v_div_fmas_f32 v11, v11, v38, v29
	s_mov_b32 vcc_lo, s2
	v_add_f32_e32 v6, v9, v6
	s_delay_alu instid0(VALU_DEP_2) | instskip(NEXT) | instid1(VALU_DEP_1)
	v_div_fixup_f32 v9, v11, v21, v18
	v_add_f32_e32 v6, v9, v6
	v_mul_f32_e32 v24, v27, v37
	s_delay_alu instid0(VALU_DEP_1) | instskip(NEXT) | instid1(VALU_DEP_1)
	v_fma_f32 v25, -v39, v24, v27
	v_fmac_f32_e32 v24, v25, v37
	s_delay_alu instid0(VALU_DEP_1) | instskip(NEXT) | instid1(VALU_DEP_1)
	v_fma_f32 v12, -v39, v24, v27
	v_div_fmas_f32 v11, v12, v37, v24
	v_div_fixup_f32 v12, v13, v15, v22
	v_cmp_lt_f32_e32 vcc_lo, v3, v5
	s_delay_alu instid0(VALU_DEP_3) | instskip(NEXT) | instid1(VALU_DEP_3)
	v_div_fixup_f32 v1, v11, v15, v1
	v_add_f32_e32 v9, v8, v12
	v_cndmask_b32_e32 v3, v3, v5, vcc_lo
	s_delay_alu instid0(VALU_DEP_3)
	v_add_f32_e32 v11, v1, v6
	v_mov_b32_e32 v1, v15
.LBB16_85:
	s_or_b32 exec_lo, exec_lo, s8
.LBB16_86:
	s_delay_alu instid0(SALU_CYCLE_1)
	s_or_b32 exec_lo, exec_lo, s7
.LBB16_87:
                                        ; implicit-def: $vgpr14
                                        ; implicit-def: $vgpr8
	s_delay_alu instid0(SALU_CYCLE_1)
	s_mov_b32 s2, exec_lo
	v_cmpx_eq_u32_e32 0, v0
	s_xor_b32 s7, exec_lo, s2
	s_cbranch_execz .LBB16_91
; %bb.88:
	s_waitcnt lgkmcnt(5)
	v_dual_mov_b32 v14, s18 :: v_dual_mov_b32 v13, s17
	s_waitcnt lgkmcnt(0)
	v_dual_mov_b32 v12, s16 :: v_dual_mov_b32 v7, s14
	v_dual_mov_b32 v8, s15 :: v_dual_mov_b32 v5, s12
	v_mov_b32_e32 v6, s13
	s_cmp_eq_u64 s[22:23], 0
	s_cbranch_scc1 .LBB16_90
; %bb.89:
	v_dual_subrev_f32 v4, s15, v4 :: v_dual_add_f32 v5, s12, v1
	v_sub_f32_e32 v7, s12, v1
	v_cmp_gt_f32_e32 vcc_lo, s13, v2
	v_mul_f32_e64 v14, s12, s12
	s_delay_alu instid0(VALU_DEP_4) | instskip(SKIP_2) | instid1(VALU_DEP_4)
	v_mul_f32_e32 v12, v4, v4
	v_mul_f32_e32 v8, s16, v1
	v_dual_mul_f32 v15, v1, v1 :: v_dual_cndmask_b32 v6, s13, v2
	v_fma_f32 v22, -s12, v1, v14
	s_delay_alu instid0(VALU_DEP_4) | instskip(SKIP_3) | instid1(VALU_DEP_4)
	v_mul_f32_e32 v17, v4, v12
	v_mul_f32_e32 v20, 0x40400000, v4
	v_dual_mul_f32 v16, s12, v12 :: v_dual_mul_f32 v19, v5, v5
	v_mul_f32_e32 v2, v4, v1
	v_mul_f32_e32 v21, s12, v17
	v_fma_f32 v8, s12, v9, -v8
	s_delay_alu instid0(VALU_DEP_4) | instskip(SKIP_1) | instid1(VALU_DEP_4)
	v_mul_f32_e32 v16, v16, v1
	v_dual_fmac_f32 v22, v1, v1 :: v_dual_mul_f32 v15, s16, v15
	v_dual_mul_f32 v21, v1, v21 :: v_dual_mul_f32 v12, 0x40c00000, v12
	s_delay_alu instid0(VALU_DEP_3) | instskip(NEXT) | instid1(VALU_DEP_3)
	v_div_scale_f32 v23, null, v5, v5, v16
	v_fmac_f32_e32 v15, v14, v9
	s_delay_alu instid0(VALU_DEP_3) | instskip(SKIP_2) | instid1(VALU_DEP_3)
	v_dual_mul_f32 v7, v7, v21 :: v_dual_mul_f32 v8, v20, v8
	v_mul_f32_e32 v21, v5, v19
	v_div_scale_f32 v13, null, v5, v5, v2
	v_div_scale_f32 v20, null, v19, v19, v7
	v_div_scale_f32 v25, vcc_lo, v2, v5, v2
	s_delay_alu instid0(VALU_DEP_3) | instskip(SKIP_1) | instid1(VALU_DEP_2)
	v_rcp_f32_e32 v18, v13
	v_rcp_f32_e32 v26, v23
	;; [unrolled: 1-line block ×3, first 2 shown]
	v_div_scale_f32 v30, s2, v16, v5, v16
	v_add_f32_e32 v11, s18, v11
	v_dual_mul_f32 v17, v4, v17 :: v_dual_mul_f32 v4, 4.0, v4
	s_delay_alu instid0(TRANS32_DEP_3)
	v_fma_f32 v24, -v13, v18, 1.0
	s_waitcnt_depctr 0xfff
	v_fma_f32 v27, -v23, v26, 1.0
	v_mul_f32_e32 v17, s12, v17
	v_fma_f32 v31, -v20, v28, 1.0
	v_fmac_f32_e32 v18, v24, v18
	s_delay_alu instid0(VALU_DEP_3) | instskip(NEXT) | instid1(VALU_DEP_3)
	v_dual_fmac_f32 v26, v27, v26 :: v_dual_mul_f32 v17, v1, v17
	v_fmac_f32_e32 v28, v31, v28
	v_div_scale_f32 v27, null, v5, v5, v8
	s_delay_alu instid0(VALU_DEP_3) | instskip(NEXT) | instid1(VALU_DEP_1)
	v_dual_mul_f32 v24, v25, v18 :: v_dual_mul_f32 v17, v22, v17
	v_fma_f32 v29, -v13, v24, v25
	s_delay_alu instid0(VALU_DEP_1) | instskip(SKIP_1) | instid1(VALU_DEP_2)
	v_fmac_f32_e32 v24, v29, v18
	v_mul_f32_e32 v29, v30, v26
	v_fma_f32 v13, -v13, v24, v25
	v_rcp_f32_e32 v25, v27
	s_delay_alu instid0(VALU_DEP_2) | instskip(SKIP_1) | instid1(VALU_DEP_3)
	v_fma_f32 v22, -v23, v29, v30
	v_mul_f32_e32 v12, v12, v15
	v_div_fmas_f32 v13, v13, v18, v24
	v_div_scale_f32 v18, null, v21, v21, v17
	s_delay_alu instid0(VALU_DEP_4) | instskip(SKIP_1) | instid1(VALU_DEP_3)
	v_fmac_f32_e32 v29, v22, v26
	v_div_scale_f32 v22, s4, v8, v5, v8
	v_rcp_f32_e32 v24, v18
	s_delay_alu instid0(TRANS32_DEP_2) | instskip(NEXT) | instid1(VALU_DEP_3)
	v_fma_f32 v14, -v27, v25, 1.0
	v_fma_f32 v23, -v23, v29, v30
	s_mov_b32 vcc_lo, s2
	v_div_fixup_f32 v2, v13, v5, v2
	v_div_scale_f32 v13, s3, v7, v19, v7
	v_fmac_f32_e32 v25, v14, v25
	v_div_scale_f32 v14, null, v19, v19, v12
	s_delay_alu instid0(TRANS32_DEP_1) | instskip(SKIP_2) | instid1(VALU_DEP_4)
	v_fma_f32 v31, -v18, v24, 1.0
	v_mul_f32_e32 v1, s17, v1
	v_div_fmas_f32 v23, v23, v26, v29
	v_rcp_f32_e32 v32, v14
	s_mov_b32 vcc_lo, s3
	v_fmac_f32_e32 v24, v31, v24
	v_fma_f32 v1, s12, v10, -v1
	v_add_f32_e32 v10, s17, v10
	v_div_scale_f32 v36, s6, v12, v19, v12
	s_delay_alu instid0(VALU_DEP_3) | instskip(SKIP_1) | instid1(TRANS32_DEP_1)
	v_mul_f32_e32 v1, v4, v1
	v_div_scale_f32 v4, s5, v17, v21, v17
	v_fma_f32 v31, -v14, v32, 1.0
	v_mul_f32_e32 v33, v22, v25
	s_delay_alu instid0(VALU_DEP_4) | instskip(NEXT) | instid1(VALU_DEP_3)
	v_div_scale_f32 v34, null, v5, v5, v1
	v_fmac_f32_e32 v32, v31, v32
	s_delay_alu instid0(VALU_DEP_2) | instskip(NEXT) | instid1(VALU_DEP_1)
	v_rcp_f32_e32 v31, v34
	v_mul_f32_e32 v26, v36, v32
	s_waitcnt_depctr 0xfff
	v_fma_f32 v29, -v34, v31, 1.0
	s_delay_alu instid0(VALU_DEP_1) | instskip(SKIP_1) | instid1(VALU_DEP_1)
	v_fmac_f32_e32 v31, v29, v31
	v_mul_f32_e32 v15, v13, v28
	v_fma_f32 v30, -v20, v15, v13
	s_delay_alu instid0(VALU_DEP_1) | instskip(SKIP_1) | instid1(VALU_DEP_2)
	v_fmac_f32_e32 v15, v30, v28
	v_fma_f32 v30, -v27, v33, v22
	v_fma_f32 v13, -v20, v15, v13
	s_delay_alu instid0(VALU_DEP_2) | instskip(NEXT) | instid1(VALU_DEP_2)
	v_fmac_f32_e32 v33, v30, v25
	v_div_fmas_f32 v13, v13, v28, v15
	s_delay_alu instid0(VALU_DEP_2) | instskip(SKIP_2) | instid1(VALU_DEP_3)
	v_fma_f32 v15, -v27, v33, v22
	v_div_scale_f32 v22, s2, v1, v5, v1
	s_mov_b32 vcc_lo, s4
	v_div_fixup_f32 v7, v13, v19, v7
	v_mul_f32_e32 v35, v4, v24
	v_div_fmas_f32 v15, v15, v25, v33
	s_mov_b32 vcc_lo, s5
	s_delay_alu instid0(VALU_DEP_3) | instskip(NEXT) | instid1(VALU_DEP_3)
	v_add_f32_e32 v10, v10, v7
	v_fma_f32 v20, -v18, v35, v4
	s_delay_alu instid0(VALU_DEP_1) | instskip(SKIP_1) | instid1(VALU_DEP_2)
	v_fmac_f32_e32 v35, v20, v24
	v_fma_f32 v20, -v14, v26, v36
	v_fma_f32 v4, -v18, v35, v4
	s_delay_alu instid0(VALU_DEP_2) | instskip(SKIP_1) | instid1(VALU_DEP_3)
	v_fmac_f32_e32 v26, v20, v32
	v_mul_f32_e32 v18, v22, v31
	v_div_fmas_f32 v4, v4, v24, v35
	s_delay_alu instid0(VALU_DEP_3) | instskip(NEXT) | instid1(VALU_DEP_3)
	v_fma_f32 v14, -v14, v26, v36
	v_fma_f32 v20, -v34, v18, v22
	s_mov_b32 vcc_lo, s6
	s_delay_alu instid0(VALU_DEP_3) | instskip(NEXT) | instid1(VALU_DEP_3)
	v_div_fixup_f32 v4, v4, v21, v17
	v_div_fmas_f32 v14, v14, v32, v26
	s_delay_alu instid0(VALU_DEP_3) | instskip(SKIP_1) | instid1(VALU_DEP_3)
	v_fmac_f32_e32 v18, v20, v31
	s_mov_b32 vcc_lo, s2
	v_dual_add_f32 v9, s16, v9 :: v_dual_add_f32 v4, v11, v4
	s_delay_alu instid0(VALU_DEP_3) | instskip(NEXT) | instid1(VALU_DEP_3)
	v_div_fixup_f32 v11, v14, v19, v12
	v_fma_f32 v13, -v34, v18, v22
	v_div_fixup_f32 v14, v15, v5, v8
	v_add_f32_e32 v8, s15, v2
	s_delay_alu instid0(VALU_DEP_3) | instskip(SKIP_3) | instid1(VALU_DEP_4)
	v_div_fmas_f32 v12, v13, v31, v18
	v_div_fixup_f32 v13, v23, v5, v16
	v_cmp_lt_f32_e32 vcc_lo, s14, v3
	v_add_f32_e32 v4, v11, v4
	v_div_fixup_f32 v1, v12, v5, v1
	s_delay_alu instid0(VALU_DEP_4) | instskip(NEXT) | instid1(VALU_DEP_2)
	v_dual_add_f32 v12, v9, v13 :: v_dual_cndmask_b32 v7, s14, v3
	v_dual_add_f32 v13, v14, v10 :: v_dual_add_f32 v14, v1, v4
.LBB16_90:
	s_or_b32 s19, s19, exec_lo
.LBB16_91:
	s_or_b32 exec_lo, exec_lo, s7
	s_branch .LBB16_100
.LBB16_92:
	s_cmp_eq_u32 s9, 1
	s_cbranch_scc0 .LBB16_99
; %bb.93:
	s_waitcnt lgkmcnt(4)
	v_mbcnt_lo_u32_b32 v5, -1, 0
	s_mov_b32 s11, 0
	s_lshr_b64 s[2:3], s[22:23], 8
	s_lshl_b32 s8, s10, 8
	s_cmp_lg_u64 s[2:3], s[10:11]
	s_cbranch_scc0 .LBB16_102
; %bb.94:
	s_mul_i32 s2, s8, 28
	s_mul_hi_u32 s3, s8, 28
	s_add_u32 s2, s20, s2
	s_addc_u32 s3, s21, s3
	s_delay_alu instid0(SALU_CYCLE_1)
	v_mad_u64_u32 v[1:2], null, v0, 28, s[2:3]
	s_waitcnt lgkmcnt(0)
	s_clause 0x1
	global_load_b128 v[6:9], v[1:2], off
	global_load_b96 v[12:14], v[1:2], off offset:16
	s_waitcnt vmcnt(1)
	v_mov_b32_dpp v2, v7 quad_perm:[1,0,3,2] row_mask:0xf bank_mask:0xf
	v_mov_b32_dpp v4, v6 quad_perm:[1,0,3,2] row_mask:0xf bank_mask:0xf
	v_mov_b32_dpp v10, v8 quad_perm:[1,0,3,2] row_mask:0xf bank_mask:0xf
	v_mov_b32_dpp v1, v9 quad_perm:[1,0,3,2] row_mask:0xf bank_mask:0xf
	s_waitcnt vmcnt(0)
	v_mov_b32_dpp v11, v12 quad_perm:[1,0,3,2] row_mask:0xf bank_mask:0xf
	v_cmp_lt_f32_e32 vcc_lo, v7, v2
	v_mov_b32_dpp v15, v13 quad_perm:[1,0,3,2] row_mask:0xf bank_mask:0xf
	v_dual_mul_f32 v17, v6, v6 :: v_dual_sub_f32 v20, v9, v1
	v_add_f32_e32 v3, v6, v4
	v_dual_cndmask_b32 v21, v2, v7 :: v_dual_sub_f32 v24, v4, v6
	v_cmp_gt_f32_e32 vcc_lo, v8, v10
	v_mov_b32_dpp v16, v14 quad_perm:[1,0,3,2] row_mask:0xf bank_mask:0xf
	v_mul_f32_e32 v2, v6, v11
	s_delay_alu instid0(VALU_DEP_4)
	v_mov_b32_dpp v23, v21 quad_perm:[2,3,0,1] row_mask:0xf bank_mask:0xf
	v_dual_add_f32 v9, v12, v11 :: v_dual_cndmask_b32 v22, v10, v8
	v_add_f32_e32 v8, v13, v15
	v_dual_mul_f32 v10, v4, v4 :: v_dual_mul_f32 v25, v17, v11
	v_dual_mul_f32 v11, v3, v3 :: v_dual_mul_f32 v18, v6, v20
	v_cmp_lt_f32_e64 s2, v21, v23
	v_add_f32_e32 v7, v14, v16
	v_dual_mul_f32 v14, v6, v15 :: v_dual_mul_f32 v17, 0x40400000, v20
	s_delay_alu instid0(VALU_DEP_4) | instskip(NEXT) | instid1(VALU_DEP_4)
	v_div_scale_f32 v16, null, v3, v3, v18
	v_cndmask_b32_e64 v21, v23, v21, s2
	v_mul_f32_e32 v15, v20, v20
	v_fma_f32 v2, v12, v4, -v2
	v_fma_f32 v26, -v6, v4, v10
	v_dual_fmac_f32 v25, v12, v10 :: v_dual_mul_f32 v12, 4.0, v20
	v_mov_b32_dpp v10, v3 quad_perm:[2,3,0,1] row_mask:0xf bank_mask:0xf
	v_mov_b32_dpp v27, v22 quad_perm:[2,3,0,1] row_mask:0xf bank_mask:0xf
	v_rcp_f32_e32 v37, v16
	v_mov_b32_dpp v31, v21 row_ror:4 row_mask:0xf bank_mask:0xf
	v_fma_f32 v13, v13, v4, -v14
	v_dual_mul_f32 v28, v20, v15 :: v_dual_mul_f32 v17, v17, v2
	v_dual_mul_f32 v30, v15, v4 :: v_dual_mul_f32 v15, 0x40c00000, v15
	v_dual_add_f32 v2, v3, v10 :: v_dual_sub_f32 v23, v10, v3
	v_cmp_gt_f32_e64 s2, v22, v27
	s_delay_alu instid0(VALU_DEP_4) | instskip(SKIP_2) | instid1(VALU_DEP_4)
	v_dual_mul_f32 v29, v10, v10 :: v_dual_mul_f32 v20, v20, v28
	v_cmp_lt_f32_e64 s6, v21, v31
	v_dual_fmac_f32 v26, v6, v6 :: v_dual_mul_f32 v13, v12, v13
	v_cndmask_b32_e64 v22, v27, v22, s2
	s_delay_alu instid0(VALU_DEP_4)
	v_fma_f32 v27, -v3, v10, v29
	v_mul_f32_e32 v34, v6, v30
	v_mul_f32_e32 v30, v15, v25
	v_mov_b32_dpp v15, v2 row_ror:4 row_mask:0xf bank_mask:0xf
	v_cndmask_b32_e64 v36, v31, v21, s6
	v_fma_f32 v31, -v16, v37, 1.0
	v_div_scale_f32 v19, vcc_lo, v18, v3, v18
	s_delay_alu instid0(VALU_DEP_4) | instskip(SKIP_1) | instid1(VALU_DEP_4)
	v_dual_mul_f32 v28, v28, v4 :: v_dual_mul_f32 v35, v15, v15
	v_div_scale_f32 v40, null, v3, v3, v13
	v_dual_mul_f32 v20, v20, v4 :: v_dual_fmac_f32 v37, v31, v37
	v_add_f32_e32 v4, v2, v15
	s_delay_alu instid0(VALU_DEP_4) | instskip(NEXT) | instid1(VALU_DEP_4)
	v_mul_f32_e32 v33, v6, v28
	v_rcp_f32_e32 v47, v40
	v_div_scale_f32 v38, null, v3, v3, v17
	v_mul_f32_e32 v57, v19, v37
	v_mul_f32_e32 v21, v4, v4
	;; [unrolled: 1-line block ×3, first 2 shown]
	v_mov_b32_dpp v20, v36 row_ror:8 row_mask:0xf bank_mask:0xf
	v_dual_mul_f32 v12, v2, v2 :: v_dual_mul_f32 v49, v24, v33
	v_mov_b32_dpp v24, v4 row_ror:8 row_mask:0xf bank_mask:0xf
	v_rcp_f32_e32 v44, v38
	s_delay_alu instid0(VALU_DEP_3)
	v_cmp_lt_f32_e64 s7, v36, v20
	v_fmac_f32_e32 v27, v3, v3
	v_div_scale_f32 v42, null, v3, v3, v34
	v_dual_mul_f32 v31, v4, v21 :: v_dual_mul_f32 v54, v26, v6
	v_fma_f32 v26, -v40, v47, 1.0
	v_add_f32_e32 v6, v4, v24
	v_cndmask_b32_e64 v20, v20, v36, s7
	v_div_scale_f32 v45, null, v11, v11, v30
	s_delay_alu instid0(VALU_DEP_4)
	v_fmac_f32_e32 v47, v26, v47
	v_rcp_f32_e32 v48, v42
	ds_swizzle_b32 v26, v6 offset:swizzle(BROADCAST,32,15)
	ds_swizzle_b32 v62, v20 offset:swizzle(BROADCAST,32,15)
	v_mov_b32_dpp v32, v22 row_ror:4 row_mask:0xf bank_mask:0xf
	v_rcp_f32_e32 v50, v45
	v_fma_f32 v53, -v38, v44, 1.0
	v_fma_f32 v64, -v16, v57, v19
	v_div_scale_f32 v43, s5, v34, v3, v34
	v_cmp_gt_f32_e64 s6, v22, v32
	v_fma_f32 v36, -v42, v48, 1.0
	s_delay_alu instid0(VALU_DEP_4) | instskip(SKIP_1) | instid1(VALU_DEP_4)
	v_dual_fmac_f32 v44, v53, v44 :: v_dual_fmac_f32 v57, v64, v37
	v_mul_f32_e32 v14, v3, v11
	v_cndmask_b32_e64 v22, v32, v22, s6
	s_delay_alu instid0(TRANS32_DEP_1)
	v_fma_f32 v60, -v45, v50, 1.0
	v_fmac_f32_e32 v48, v36, v48
	v_fma_f32 v16, -v16, v57, v19
	v_div_scale_f32 v39, s3, v17, v3, v17
	v_mov_b32_dpp v33, v22 row_ror:8 row_mask:0xf bank_mask:0xf
	v_div_scale_f32 v41, s2, v13, v3, v13
	s_delay_alu instid0(VALU_DEP_4)
	v_div_fmas_f32 v57, v16, v37, v57
	s_waitcnt lgkmcnt(1)
	v_sub_f32_e32 v37, v26, v6
	s_waitcnt lgkmcnt(0)
	v_cmp_lt_f32_e32 vcc_lo, v20, v62
	v_fmac_f32_e32 v50, v60, v50
	v_mul_f32_e32 v64, v43, v48
	v_cmp_gt_f32_e64 s7, v22, v33
	v_div_scale_f32 v46, s4, v30, v11, v30
	v_div_scale_f32 v51, null, v11, v11, v49
	s_delay_alu instid0(VALU_DEP_4) | instskip(NEXT) | instid1(VALU_DEP_4)
	v_fma_f32 v19, -v42, v64, v43
	v_cndmask_b32_e64 v55, v33, v22, s7
	v_add_f32_e32 v16, v6, v26
	s_delay_alu instid0(VALU_DEP_4)
	v_rcp_f32_e32 v58, v51
	v_div_scale_f32 v53, null, v14, v14, v54
	v_fmac_f32_e32 v64, v19, v48
	v_cndmask_b32_e32 v19, v62, v20, vcc_lo
	v_dual_mul_f32 v56, v24, v24 :: v_dual_mul_f32 v69, v46, v50
	v_dual_mul_f32 v22, v6, v6 :: v_dual_mul_f32 v65, v39, v44
	ds_swizzle_b32 v63, v55 offset:swizzle(BROADCAST,32,15)
	v_fma_f32 v61, -v4, v24, v56
	v_mul_f32_e32 v60, v41, v47
	v_rcp_f32_e32 v66, v53
	v_fma_f32 v68, -v38, v65, v39
	v_div_scale_f32 v59, s7, v54, v14, v54
	v_fmac_f32_e32 v61, v4, v4
	v_fma_f32 v70, -v40, v60, v41
	s_delay_alu instid0(VALU_DEP_4) | instskip(SKIP_2) | instid1(VALU_DEP_4)
	v_dual_mul_f32 v36, v6, v22 :: v_dual_fmac_f32 v65, v68, v44
	v_fma_f32 v67, -v51, v58, 1.0
	v_div_scale_f32 v52, s6, v49, v11, v49
	v_fmac_f32_e32 v60, v70, v47
	s_delay_alu instid0(VALU_DEP_4) | instskip(SKIP_2) | instid1(VALU_DEP_4)
	v_fma_f32 v38, -v38, v65, v39
	v_fma_f32 v68, -v45, v69, v46
	v_dual_mul_f32 v25, v2, v12 :: v_dual_sub_f32 v28, v15, v2
	v_fma_f32 v39, -v40, v60, v41
	v_div_fixup_f32 v41, v57, v3, v18
	v_fmac_f32_e32 v58, v67, v58
	v_fma_f32 v67, -v53, v66, 1.0
	s_waitcnt lgkmcnt(0)
	v_cmp_gt_f32_e32 vcc_lo, v55, v63
	v_fmac_f32_e32 v69, v68, v50
	v_dual_add_f32 v41, v41, v1 :: v_dual_mul_f32 v70, v52, v58
	v_fmac_f32_e32 v66, v67, v66
	v_cndmask_b32_e32 v20, v63, v55, vcc_lo
	s_mov_b32 vcc_lo, s5
	v_fma_f32 v45, -v45, v69, v46
	v_fma_f32 v32, -v2, v15, v35
	v_dual_mul_f32 v55, v59, v66 :: v_dual_mul_f32 v18, v16, v16
	s_delay_alu instid0(VALU_DEP_2) | instskip(NEXT) | instid1(VALU_DEP_2)
	v_dual_sub_f32 v33, v24, v4 :: v_dual_fmac_f32 v32, v2, v2
	v_mul_f32_e32 v1, v16, v18
	v_fma_f32 v42, -v42, v64, v43
	v_fma_f32 v43, -v51, v70, v52
	s_delay_alu instid0(VALU_DEP_2) | instskip(NEXT) | instid1(VALU_DEP_2)
	v_div_fmas_f32 v42, v42, v48, v64
	v_fmac_f32_e32 v70, v43, v58
	v_fma_f32 v43, -v53, v55, v59
	s_mov_b32 vcc_lo, s6
	s_delay_alu instid0(VALU_DEP_3) | instskip(NEXT) | instid1(VALU_DEP_3)
	v_div_fixup_f32 v34, v42, v3, v34
	v_fma_f32 v42, -v51, v70, v52
	s_delay_alu instid0(VALU_DEP_3) | instskip(SKIP_1) | instid1(VALU_DEP_4)
	v_fmac_f32_e32 v55, v43, v66
	v_mov_b32_dpp v43, v41 quad_perm:[2,3,0,1] row_mask:0xf bank_mask:0xf
	v_add_f32_e32 v9, v9, v34
	s_delay_alu instid0(VALU_DEP_4) | instskip(NEXT) | instid1(VALU_DEP_4)
	v_div_fmas_f32 v34, v42, v58, v70
	v_fma_f32 v42, -v53, v55, v59
	s_delay_alu instid0(VALU_DEP_4) | instskip(SKIP_3) | instid1(VALU_DEP_2)
	v_sub_f32_e32 v41, v41, v43
	s_mov_b32 vcc_lo, s3
	v_div_fmas_f32 v38, v38, v44, v65
	s_mov_b32 vcc_lo, s7
	v_mul_f32_e32 v51, 0x40400000, v41
	v_div_fmas_f32 v42, v42, v66, v55
	s_mov_b32 vcc_lo, s4
	v_mov_b32_dpp v44, v9 quad_perm:[2,3,0,1] row_mask:0xf bank_mask:0xf
	v_div_fixup_f32 v17, v38, v3, v17
	v_div_fmas_f32 v38, v45, v50, v69
	v_div_fixup_f32 v14, v42, v14, v54
	s_mov_b32 vcc_lo, s2
	v_mul_f32_e32 v40, v26, v26
	v_div_fixup_f32 v34, v34, v11, v49
	v_dual_mul_f32 v48, v41, v41 :: v_dual_mul_f32 v53, v3, v44
	v_mul_f32_e32 v49, v3, v41
	v_dual_mul_f32 v52, 4.0, v41 :: v_dual_add_f32 v7, v7, v14
	v_div_fmas_f32 v39, v39, v47, v60
	v_add_f32_e32 v47, v9, v44
	v_mul_f32_e32 v44, v11, v44
	v_div_fixup_f32 v11, v38, v11, v30
	v_add_f32_e32 v8, v8, v34
	v_div_scale_f32 v42, null, v2, v2, v49
	v_div_fixup_f32 v13, v39, v3, v13
	s_delay_alu instid0(VALU_DEP_4) | instskip(SKIP_2) | instid1(VALU_DEP_3)
	v_dual_add_f32 v7, v11, v7 :: v_dual_mul_f32 v50, v48, v10
	v_fma_f32 v38, v9, v10, -v53
	v_div_scale_f32 v45, vcc_lo, v49, v2, v49
	v_add_f32_e32 v7, v13, v7
	v_add_f32_e32 v8, v17, v8
	v_rcp_f32_e32 v17, v42
	v_mul_f32_e32 v30, v3, v50
	v_fma_f32 v46, -v6, v26, v40
	s_delay_alu instid0(VALU_DEP_2) | instskip(NEXT) | instid1(VALU_DEP_2)
	v_div_scale_f32 v11, null, v2, v2, v30
	v_fmac_f32_e32 v46, v6, v6
	s_waitcnt_depctr 0xfff
	v_fma_f32 v13, -v42, v17, 1.0
	s_delay_alu instid0(VALU_DEP_1) | instskip(SKIP_3) | instid1(VALU_DEP_1)
	v_fmac_f32_e32 v17, v13, v17
	v_fmac_f32_e32 v44, v29, v9
	v_mov_b32_dpp v9, v8 quad_perm:[2,3,0,1] row_mask:0xf bank_mask:0xf
	v_mul_f32_e32 v34, v41, v48
	v_mul_f32_e32 v14, v41, v34
	;; [unrolled: 1-line block ×3, first 2 shown]
	v_rcp_f32_e32 v41, v11
	s_delay_alu instid0(VALU_DEP_2) | instskip(NEXT) | instid1(VALU_DEP_2)
	v_mul_f32_e32 v14, v14, v10
	v_mul_f32_e32 v34, v3, v34
	;; [unrolled: 1-line block ×3, first 2 shown]
	s_delay_alu instid0(VALU_DEP_3) | instskip(NEXT) | instid1(VALU_DEP_3)
	v_mul_f32_e32 v14, v3, v14
	v_mul_f32_e32 v23, v23, v34
	;; [unrolled: 1-line block ×3, first 2 shown]
	s_delay_alu instid0(VALU_DEP_3) | instskip(NEXT) | instid1(VALU_DEP_3)
	v_mul_f32_e32 v14, v27, v14
	v_div_scale_f32 v13, null, v12, v12, v23
	v_div_scale_f32 v53, s5, v23, v12, v23
	s_delay_alu instid0(VALU_DEP_3) | instskip(NEXT) | instid1(VALU_DEP_3)
	v_div_scale_f32 v57, s6, v14, v25, v14
	v_rcp_f32_e32 v55, v13
	s_waitcnt_depctr 0xfff
	v_fma_f32 v63, -v13, v55, 1.0
	s_delay_alu instid0(VALU_DEP_1) | instskip(SKIP_3) | instid1(VALU_DEP_3)
	v_fmac_f32_e32 v55, v63, v55
	v_mul_f32_e32 v39, v48, v44
	v_add_f32_e32 v44, v8, v9
	v_mov_b32_dpp v9, v7 quad_perm:[2,3,0,1] row_mask:0xf bank_mask:0xf
	v_div_scale_f32 v50, null, v12, v12, v39
	s_delay_alu instid0(VALU_DEP_2)
	v_add_f32_e32 v7, v7, v9
	v_fma_f32 v3, v8, v10, -v3
	v_mul_f32_e32 v8, v45, v17
	v_fma_f32 v10, -v11, v41, 1.0
	v_rcp_f32_e32 v27, v50
	v_div_scale_f32 v9, null, v25, v25, v14
	v_mul_f32_e32 v3, v52, v3
	v_fma_f32 v52, -v42, v8, v45
	v_fmac_f32_e32 v41, v10, v41
	v_div_scale_f32 v29, s2, v30, v2, v30
	s_delay_alu instid0(VALU_DEP_4) | instskip(NEXT) | instid1(VALU_DEP_4)
	v_div_scale_f32 v62, s7, v3, v2, v3
	v_fmac_f32_e32 v8, v52, v17
	s_delay_alu instid0(VALU_DEP_3) | instskip(NEXT) | instid1(TRANS32_DEP_1)
	v_mul_f32_e32 v52, v29, v41
	v_fma_f32 v59, -v50, v27, 1.0
	v_rcp_f32_e32 v58, v9
	v_div_scale_f32 v60, null, v2, v2, v3
	v_fma_f32 v42, -v42, v8, v45
	v_fma_f32 v45, -v11, v52, v29
	v_fmac_f32_e32 v27, v59, v27
	s_delay_alu instid0(VALU_DEP_3) | instskip(NEXT) | instid1(VALU_DEP_3)
	v_div_fmas_f32 v8, v42, v17, v8
	v_fmac_f32_e32 v52, v45, v41
	v_mul_f32_e32 v17, v53, v55
	s_mov_b32 vcc_lo, s2
	s_delay_alu instid0(TRANS32_DEP_1)
	v_fma_f32 v63, -v9, v58, 1.0
	v_div_fixup_f32 v8, v8, v2, v49
	v_fma_f32 v11, -v11, v52, v29
	v_fma_f32 v29, -v13, v17, v53
	v_mul_f32_e32 v38, v51, v38
	v_div_scale_f32 v51, s4, v39, v12, v39
	s_delay_alu instid0(VALU_DEP_4) | instskip(NEXT) | instid1(VALU_DEP_4)
	v_div_fmas_f32 v11, v11, v41, v52
	v_fmac_f32_e32 v17, v29, v55
	s_delay_alu instid0(VALU_DEP_4) | instskip(SKIP_2) | instid1(VALU_DEP_2)
	v_div_scale_f32 v34, null, v2, v2, v38
	s_mov_b32 vcc_lo, s5
	v_div_scale_f32 v48, s3, v38, v2, v38
	v_rcp_f32_e32 v54, v34
	v_fma_f32 v13, -v13, v17, v53
	v_div_fixup_f32 v11, v11, v2, v30
	v_add_f32_e32 v8, v8, v43
	s_delay_alu instid0(VALU_DEP_3) | instskip(NEXT) | instid1(VALU_DEP_3)
	v_div_fmas_f32 v13, v13, v55, v17
	v_add_f32_e32 v11, v47, v11
	s_mov_b32 vcc_lo, s3
	s_waitcnt_depctr 0xfff
	v_fma_f32 v10, -v34, v54, 1.0
	v_div_fixup_f32 v13, v13, v12, v23
	s_delay_alu instid0(VALU_DEP_2) | instskip(SKIP_1) | instid1(VALU_DEP_1)
	v_fmac_f32_e32 v54, v10, v54
	v_rcp_f32_e32 v10, v60
	v_mul_f32_e32 v59, v48, v54
	s_delay_alu instid0(VALU_DEP_1) | instskip(NEXT) | instid1(VALU_DEP_1)
	v_fma_f32 v42, -v34, v59, v48
	v_fmac_f32_e32 v59, v42, v54
	v_add_f32_e32 v13, v44, v13
	s_delay_alu instid0(VALU_DEP_2) | instskip(NEXT) | instid1(VALU_DEP_1)
	v_fma_f32 v29, -v34, v59, v48
	v_div_fmas_f32 v17, v29, v54, v59
	v_mov_b32_dpp v29, v11 row_ror:4 row_mask:0xf bank_mask:0xf
	v_fmac_f32_e32 v58, v63, v58
	s_delay_alu instid0(TRANS32_DEP_1)
	v_fma_f32 v63, -v60, v10, 1.0
	v_mul_f32_e32 v64, v51, v27
	v_div_fixup_f32 v17, v17, v2, v38
	s_mov_b32 vcc_lo, s6
	v_mul_f32_e32 v42, v57, v58
	v_fmac_f32_e32 v10, v63, v10
	v_fma_f32 v45, -v50, v64, v51
	v_add_f32_e32 v13, v17, v13
	s_delay_alu instid0(VALU_DEP_4) | instskip(NEXT) | instid1(VALU_DEP_3)
	v_fma_f32 v34, -v9, v42, v57
	v_dual_mul_f32 v41, v62, v10 :: v_dual_fmac_f32 v64, v45, v27
	s_delay_alu instid0(VALU_DEP_2) | instskip(NEXT) | instid1(VALU_DEP_2)
	v_fmac_f32_e32 v42, v34, v58
	v_fma_f32 v30, -v60, v41, v62
	s_delay_alu instid0(VALU_DEP_3) | instskip(SKIP_1) | instid1(VALU_DEP_4)
	v_fma_f32 v43, -v50, v64, v51
	v_mov_b32_dpp v34, v8 row_ror:4 row_mask:0xf bank_mask:0xf
	v_fma_f32 v9, -v9, v42, v57
	s_delay_alu instid0(VALU_DEP_4) | instskip(NEXT) | instid1(VALU_DEP_2)
	v_fmac_f32_e32 v41, v30, v10
	v_div_fmas_f32 v9, v9, v58, v42
	s_delay_alu instid0(VALU_DEP_2)
	v_fma_f32 v23, -v60, v41, v62
	s_mov_b32 vcc_lo, s4
	v_div_fmas_f32 v27, v43, v27, v64
	s_mov_b32 vcc_lo, s7
	v_mul_f32_e32 v43, v2, v29
	v_div_fmas_f32 v10, v23, v10, v41
	s_delay_alu instid0(VALU_DEP_2) | instskip(NEXT) | instid1(VALU_DEP_2)
	v_fma_f32 v17, v11, v15, -v43
	v_div_fixup_f32 v3, v10, v2, v3
	v_sub_f32_e32 v8, v8, v34
	s_delay_alu instid0(VALU_DEP_1) | instskip(SKIP_1) | instid1(VALU_DEP_1)
	v_mul_f32_e32 v47, 4.0, v8
	v_div_fixup_f32 v9, v9, v25, v14
	v_add_f32_e32 v7, v7, v9
	v_add_f32_e32 v38, v11, v29
	v_mul_f32_e32 v29, v12, v29
	v_div_fixup_f32 v12, v27, v12, v39
	s_delay_alu instid0(VALU_DEP_2) | instskip(NEXT) | instid1(VALU_DEP_2)
	v_fmac_f32_e32 v29, v35, v11
	v_add_f32_e32 v7, v12, v7
	v_mov_b32_dpp v11, v13 row_ror:4 row_mask:0xf bank_mask:0xf
	s_delay_alu instid0(VALU_DEP_2) | instskip(NEXT) | instid1(VALU_DEP_2)
	v_dual_add_f32 v3, v3, v7 :: v_dual_mul_f32 v42, v2, v8
	v_dual_mul_f32 v30, v8, v8 :: v_dual_add_f32 v35, v13, v11
	v_mul_f32_e32 v45, 0x40400000, v8
	s_delay_alu instid0(VALU_DEP_3) | instskip(NEXT) | instid1(VALU_DEP_3)
	v_div_scale_f32 v23, null, v4, v4, v42
	v_mul_f32_e32 v41, v30, v15
	s_delay_alu instid0(VALU_DEP_3) | instskip(NEXT) | instid1(VALU_DEP_3)
	v_mul_f32_e32 v17, v45, v17
	v_rcp_f32_e32 v9, v23
	s_delay_alu instid0(VALU_DEP_2) | instskip(NEXT) | instid1(VALU_DEP_2)
	v_mul_f32_e32 v10, v2, v41
	v_div_scale_f32 v39, s3, v17, v4, v17
	s_delay_alu instid0(VALU_DEP_2) | instskip(SKIP_3) | instid1(VALU_DEP_1)
	v_div_scale_f32 v12, null, v4, v4, v10
	v_div_scale_f32 v27, s2, v10, v4, v10
	s_waitcnt_depctr 0xfff
	v_fma_f32 v7, -v23, v9, 1.0
	v_fmac_f32_e32 v9, v7, v9
	v_div_scale_f32 v25, vcc_lo, v42, v4, v42
	v_mul_f32_e32 v14, v8, v30
	s_delay_alu instid0(VALU_DEP_1) | instskip(SKIP_1) | instid1(VALU_DEP_2)
	v_mul_f32_e32 v8, v8, v14
	v_mul_f32_e32 v14, v14, v15
	;; [unrolled: 1-line block ×3, first 2 shown]
	s_delay_alu instid0(VALU_DEP_2) | instskip(NEXT) | instid1(VALU_DEP_2)
	v_mul_f32_e32 v14, v2, v14
	v_mul_f32_e32 v8, v2, v8
	;; [unrolled: 1-line block ×3, first 2 shown]
	v_mov_b32_dpp v11, v3 row_ror:4 row_mask:0xf bank_mask:0xf
	v_mul_f32_e32 v30, 0x40c00000, v30
	v_mul_f32_e32 v14, v28, v14
	v_div_scale_f32 v28, null, v4, v4, v17
	s_delay_alu instid0(VALU_DEP_4) | instskip(NEXT) | instid1(VALU_DEP_4)
	v_add_f32_e32 v3, v3, v11
	v_mul_f32_e32 v29, v30, v29
	v_rcp_f32_e32 v30, v12
	v_fma_f32 v2, v13, v15, -v2
	v_mul_f32_e32 v13, v25, v9
	v_rcp_f32_e32 v45, v28
	v_div_scale_f32 v41, null, v21, v21, v29
	s_delay_alu instid0(VALU_DEP_3) | instskip(NEXT) | instid1(VALU_DEP_3)
	v_mul_f32_e32 v2, v47, v2
	v_fma_f32 v47, -v23, v13, v25
	v_div_scale_f32 v43, s4, v29, v21, v29
	s_delay_alu instid0(TRANS32_DEP_2) | instskip(NEXT) | instid1(VALU_DEP_3)
	v_fma_f32 v15, -v12, v30, 1.0
	v_fmac_f32_e32 v13, v47, v9
	s_delay_alu instid0(VALU_DEP_2) | instskip(NEXT) | instid1(TRANS32_DEP_1)
	v_fmac_f32_e32 v30, v15, v30
	v_fma_f32 v15, -v28, v45, 1.0
	s_delay_alu instid0(VALU_DEP_3) | instskip(NEXT) | instid1(VALU_DEP_3)
	v_fma_f32 v23, -v23, v13, v25
	v_mul_f32_e32 v47, v27, v30
	s_delay_alu instid0(VALU_DEP_3) | instskip(NEXT) | instid1(VALU_DEP_3)
	v_fmac_f32_e32 v45, v15, v45
	v_div_fmas_f32 v9, v23, v9, v13
	s_mov_b32 vcc_lo, s2
	s_delay_alu instid0(VALU_DEP_3) | instskip(NEXT) | instid1(VALU_DEP_2)
	v_fma_f32 v25, -v12, v47, v27
	v_div_fixup_f32 v9, v9, v4, v42
	s_delay_alu instid0(VALU_DEP_2) | instskip(SKIP_1) | instid1(VALU_DEP_2)
	v_dual_fmac_f32 v47, v25, v30 :: v_dual_mul_f32 v8, v32, v8
	v_rcp_f32_e32 v32, v41
	v_add_f32_e32 v9, v9, v34
	s_delay_alu instid0(VALU_DEP_2) | instskip(NEXT) | instid1(VALU_DEP_3)
	v_fma_f32 v12, -v12, v47, v27
	v_div_scale_f32 v11, null, v31, v31, v8
	v_div_scale_f32 v49, s6, v8, v31, v8
	s_delay_alu instid0(VALU_DEP_2) | instskip(SKIP_2) | instid1(VALU_DEP_1)
	v_rcp_f32_e32 v50, v11
	s_waitcnt_depctr 0xfff
	v_fma_f32 v51, -v41, v32, 1.0
	v_fmac_f32_e32 v32, v51, v32
	v_mul_f32_e32 v51, v39, v45
	s_delay_alu instid0(VALU_DEP_2) | instskip(NEXT) | instid1(VALU_DEP_2)
	v_mul_f32_e32 v55, v43, v32
	v_fma_f32 v23, -v28, v51, v39
	s_delay_alu instid0(VALU_DEP_2) | instskip(NEXT) | instid1(VALU_DEP_2)
	v_fma_f32 v25, -v41, v55, v43
	v_fmac_f32_e32 v51, v23, v45
	v_div_scale_f32 v7, null, v21, v21, v14
	v_div_scale_f32 v44, s5, v14, v21, v14
	s_delay_alu instid0(VALU_DEP_4) | instskip(NEXT) | instid1(VALU_DEP_3)
	v_fmac_f32_e32 v55, v25, v32
	v_rcp_f32_e32 v48, v7
	v_div_scale_f32 v52, null, v4, v4, v2
	v_div_scale_f32 v53, s7, v2, v4, v2
	v_fma_f32 v25, -v28, v51, v39
	s_delay_alu instid0(VALU_DEP_3) | instskip(SKIP_2) | instid1(VALU_DEP_1)
	v_rcp_f32_e32 v15, v52
	s_waitcnt_depctr 0xfff
	v_fma_f32 v54, -v7, v48, 1.0
	v_fmac_f32_e32 v48, v54, v48
	v_fma_f32 v54, -v11, v50, 1.0
	s_delay_alu instid0(VALU_DEP_2) | instskip(NEXT) | instid1(VALU_DEP_1)
	v_mul_f32_e32 v13, v44, v48
	v_fma_f32 v27, -v7, v13, v44
	s_delay_alu instid0(VALU_DEP_3) | instskip(SKIP_1) | instid1(VALU_DEP_3)
	v_fmac_f32_e32 v50, v54, v50
	v_fma_f32 v54, -v52, v15, 1.0
	v_fmac_f32_e32 v13, v27, v48
	s_delay_alu instid0(VALU_DEP_3) | instskip(NEXT) | instid1(VALU_DEP_3)
	v_mul_f32_e32 v23, v49, v50
	v_fmac_f32_e32 v15, v54, v15
	v_div_fmas_f32 v12, v12, v30, v47
	s_mov_b32 vcc_lo, s5
	v_fma_f32 v7, -v7, v13, v44
	v_fma_f32 v27, -v11, v23, v49
	;; [unrolled: 1-line block ×3, first 2 shown]
	v_div_fixup_f32 v10, v12, v4, v10
	s_delay_alu instid0(VALU_DEP_3) | instskip(SKIP_1) | instid1(VALU_DEP_3)
	v_fmac_f32_e32 v23, v27, v50
	v_mov_b32_dpp v27, v9 row_ror:8 row_mask:0xf bank_mask:0xf
	v_add_f32_e32 v10, v38, v10
	v_div_fmas_f32 v7, v7, v48, v13
	s_mov_b32 vcc_lo, s3
	v_fma_f32 v11, -v11, v23, v49
	v_sub_f32_e32 v9, v9, v27
	v_mul_f32_e32 v28, v53, v15
	v_div_fixup_f32 v7, v7, v21, v14
	v_mov_b32_dpp v14, v10 row_ror:8 row_mask:0xf bank_mask:0xf
	s_delay_alu instid0(VALU_DEP_4) | instskip(NEXT) | instid1(VALU_DEP_4)
	v_mul_f32_e32 v34, 0x40400000, v9
	v_fma_f32 v12, -v52, v28, v53
	s_delay_alu instid0(VALU_DEP_4) | instskip(NEXT) | instid1(VALU_DEP_2)
	v_add_f32_e32 v7, v35, v7
	v_fmac_f32_e32 v28, v12, v15
	v_div_fmas_f32 v12, v25, v45, v51
	s_mov_b32 vcc_lo, s6
	v_mul_f32_e32 v25, v4, v9
	v_div_fmas_f32 v11, v11, v50, v23
	v_mul_f32_e32 v23, v9, v9
	v_fma_f32 v13, -v52, v28, v53
	s_mov_b32 vcc_lo, s4
	v_div_fixup_f32 v12, v12, v4, v17
	v_div_fmas_f32 v17, v30, v32, v55
	s_mov_b32 vcc_lo, s7
	v_mul_f32_e32 v38, 4.0, v9
	v_div_fixup_f32 v8, v11, v31, v8
	v_div_fmas_f32 v11, v13, v15, v28
	v_mul_f32_e32 v13, v9, v23
	v_div_scale_f32 v15, null, v6, v6, v25
	v_dual_add_f32 v30, v10, v14 :: v_dual_mul_f32 v31, v23, v24
	v_dual_mul_f32 v32, v4, v14 :: v_dual_mul_f32 v23, 0x40c00000, v23
	v_dual_mul_f32 v14, v21, v14 :: v_dual_add_f32 v7, v12, v7
	v_div_fixup_f32 v17, v17, v21, v29
	v_dual_add_f32 v3, v3, v8 :: v_dual_mul_f32 v8, v9, v13
	v_rcp_f32_e32 v9, v15
	v_div_fixup_f32 v2, v11, v4, v2
	v_dual_mul_f32 v11, v4, v31 :: v_dual_mul_f32 v12, v13, v24
	s_delay_alu instid0(VALU_DEP_3) | instskip(SKIP_1) | instid1(VALU_DEP_3)
	v_dual_fmac_f32 v14, v56, v10 :: v_dual_add_f32 v3, v17, v3
	v_div_scale_f32 v28, vcc_lo, v25, v6, v25
	v_div_scale_f32 v17, null, v6, v6, v11
	s_delay_alu instid0(VALU_DEP_3) | instskip(NEXT) | instid1(TRANS32_DEP_1)
	v_add_f32_e32 v2, v2, v3
	v_fma_f32 v3, -v15, v9, 1.0
	v_fma_f32 v13, v10, v24, -v32
	v_mov_b32_dpp v10, v7 row_ror:8 row_mask:0xf bank_mask:0xf
	v_mul_f32_e32 v8, v8, v24
	s_delay_alu instid0(VALU_DEP_4) | instskip(NEXT) | instid1(VALU_DEP_4)
	v_dual_mul_f32 v12, v4, v12 :: v_dual_fmac_f32 v9, v3, v9
	v_dual_mul_f32 v13, v34, v13 :: v_dual_mul_f32 v14, v23, v14
	v_rcp_f32_e32 v23, v17
	s_delay_alu instid0(VALU_DEP_3) | instskip(SKIP_1) | instid1(VALU_DEP_3)
	v_dual_add_f32 v29, v7, v10 :: v_dual_mul_f32 v8, v4, v8
	v_mul_f32_e32 v4, v4, v10
	v_div_scale_f32 v31, null, v6, v6, v13
	v_mov_b32_dpp v10, v2 row_ror:8 row_mask:0xf bank_mask:0xf
	v_div_scale_f32 v32, s3, v13, v6, v13
	s_delay_alu instid0(VALU_DEP_4) | instskip(NEXT) | instid1(TRANS32_DEP_1)
	v_fma_f32 v4, v7, v24, -v4
	v_fma_f32 v24, -v17, v23, 1.0
	v_mul_f32_e32 v12, v33, v12
	v_rcp_f32_e32 v39, v31
	v_mul_f32_e32 v7, v28, v9
	v_div_scale_f32 v33, null, v22, v22, v14
	v_fmac_f32_e32 v23, v24, v23
	v_div_scale_f32 v3, null, v22, v22, v12
	v_div_scale_f32 v35, s5, v12, v22, v12
	s_delay_alu instid0(VALU_DEP_4) | instskip(NEXT) | instid1(VALU_DEP_2)
	v_rcp_f32_e32 v41, v33
	v_rcp_f32_e32 v42, v3
	s_delay_alu instid0(TRANS32_DEP_3) | instskip(SKIP_2) | instid1(VALU_DEP_3)
	v_fma_f32 v24, -v31, v39, 1.0
	v_div_scale_f32 v21, s2, v11, v6, v11
	v_div_scale_f32 v34, s4, v14, v22, v14
	v_dual_fmac_f32 v39, v24, v39 :: v_dual_add_f32 v2, v2, v10
	s_waitcnt_depctr 0xfff
	v_fma_f32 v45, -v33, v41, 1.0
	v_fma_f32 v49, -v3, v42, 1.0
	s_delay_alu instid0(VALU_DEP_2) | instskip(NEXT) | instid1(VALU_DEP_2)
	v_fmac_f32_e32 v41, v45, v41
	v_dual_mul_f32 v45, v32, v39 :: v_dual_fmac_f32 v42, v49, v42
	v_mul_f32_e32 v4, v38, v4
	v_fma_f32 v38, -v15, v7, v28
	s_delay_alu instid0(VALU_DEP_1) | instskip(NEXT) | instid1(VALU_DEP_1)
	v_dual_fmac_f32 v7, v38, v9 :: v_dual_mul_f32 v8, v61, v8
	v_fma_f32 v15, -v15, v7, v28
	s_delay_alu instid0(VALU_DEP_2) | instskip(SKIP_1) | instid1(VALU_DEP_3)
	v_div_scale_f32 v10, null, v36, v36, v8
	v_div_scale_f32 v43, s6, v8, v36, v8
	v_div_fmas_f32 v7, v15, v9, v7
	s_delay_alu instid0(VALU_DEP_3) | instskip(SKIP_2) | instid1(VALU_DEP_2)
	v_rcp_f32_e32 v44, v10
	v_fma_f32 v15, -v31, v45, v32
	s_mov_b32 vcc_lo, s2
	v_div_fixup_f32 v7, v7, v6, v25
	s_delay_alu instid0(VALU_DEP_2) | instskip(SKIP_2) | instid1(VALU_DEP_4)
	v_dual_mul_f32 v50, v34, v41 :: v_dual_fmac_f32 v45, v15, v39
	v_mul_f32_e32 v9, v35, v42
	v_div_scale_f32 v47, null, v6, v6, v4
	v_add_f32_e32 v7, v7, v27
	s_delay_alu instid0(TRANS32_DEP_1) | instskip(SKIP_1) | instid1(VALU_DEP_4)
	v_fma_f32 v49, -v10, v44, 1.0
	v_div_scale_f32 v48, s7, v4, v6, v4
	v_rcp_f32_e32 v24, v47
	s_delay_alu instid0(VALU_DEP_2) | instskip(NEXT) | instid1(VALU_DEP_1)
	v_fmac_f32_e32 v44, v49, v44
	v_dual_mul_f32 v38, v21, v23 :: v_dual_mul_f32 v15, v43, v44
	s_delay_alu instid0(VALU_DEP_1) | instskip(SKIP_4) | instid1(VALU_DEP_2)
	v_fma_f32 v28, -v17, v38, v21
	s_waitcnt_depctr 0xfff
	v_fma_f32 v49, -v47, v24, 1.0
	v_fmac_f32_e32 v38, v28, v23
	v_fma_f32 v28, -v33, v50, v34
	v_fma_f32 v17, -v17, v38, v21
	;; [unrolled: 1-line block ×3, first 2 shown]
	s_delay_alu instid0(VALU_DEP_1) | instskip(NEXT) | instid1(VALU_DEP_3)
	v_fmac_f32_e32 v9, v21, v42
	v_div_fmas_f32 v17, v17, v23, v38
	v_fma_f32 v23, -v10, v15, v43
	v_fma_f32 v21, -v31, v45, v32
	s_mov_b32 vcc_lo, s5
	v_fma_f32 v3, -v3, v9, v35
	v_div_fixup_f32 v11, v17, v6, v11
	s_delay_alu instid0(VALU_DEP_2) | instskip(NEXT) | instid1(VALU_DEP_2)
	v_div_fmas_f32 v3, v3, v42, v9
	v_dual_add_f32 v11, v30, v11 :: v_dual_fmac_f32 v50, v28, v41
	v_fmac_f32_e32 v15, v23, v44
	s_mov_b32 vcc_lo, s3
	s_delay_alu instid0(VALU_DEP_3)
	v_div_fixup_f32 v3, v3, v22, v12
	ds_swizzle_b32 v23, v7 offset:swizzle(BROADCAST,32,15)
	v_fma_f32 v27, -v33, v50, v34
	v_fma_f32 v9, -v10, v15, v43
	v_div_fmas_f32 v10, v21, v39, v45
	s_mov_b32 vcc_lo, s6
	s_delay_alu instid0(VALU_DEP_2) | instskip(NEXT) | instid1(VALU_DEP_2)
	v_div_fmas_f32 v9, v9, v44, v15
	v_div_fixup_f32 v10, v10, v6, v13
	s_mov_b32 vcc_lo, s4
	ds_swizzle_b32 v15, v11 offset:swizzle(BROADCAST,32,15)
	v_div_fmas_f32 v13, v27, v41, v50
	v_div_fixup_f32 v8, v9, v36, v8
	v_add_f32_e32 v3, v29, v3
	s_mov_b32 vcc_lo, s7
	s_delay_alu instid0(VALU_DEP_2) | instskip(NEXT) | instid1(VALU_DEP_2)
	v_add_f32_e32 v2, v2, v8
	v_dual_fmac_f32 v24, v49, v24 :: v_dual_add_f32 v3, v10, v3
	s_delay_alu instid0(VALU_DEP_1) | instskip(SKIP_2) | instid1(VALU_DEP_1)
	v_mul_f32_e32 v25, v48, v24
	ds_swizzle_b32 v8, v3 offset:swizzle(BROADCAST,32,15)
	v_fma_f32 v17, -v47, v25, v48
	v_fmac_f32_e32 v25, v17, v24
	s_delay_alu instid0(VALU_DEP_1) | instskip(NEXT) | instid1(VALU_DEP_1)
	v_fma_f32 v12, -v47, v25, v48
	v_div_fmas_f32 v9, v12, v24, v25
	v_div_fixup_f32 v12, v13, v22, v14
	s_delay_alu instid0(VALU_DEP_2) | instskip(SKIP_1) | instid1(VALU_DEP_2)
	v_div_fixup_f32 v4, v9, v6, v4
	s_waitcnt lgkmcnt(2)
	v_dual_add_f32 v2, v12, v2 :: v_dual_sub_f32 v7, v7, v23
	s_delay_alu instid0(VALU_DEP_1) | instskip(SKIP_4) | instid1(VALU_DEP_1)
	v_dual_add_f32 v2, v4, v2 :: v_dual_mul_f32 v9, v7, v7
	v_mul_f32_e32 v13, 4.0, v7
	v_mul_f32_e32 v10, v6, v7
	ds_swizzle_b32 v25, v2 offset:swizzle(BROADCAST,32,15)
	v_mul_f32_e32 v4, v7, v9
	v_dual_mul_f32 v12, 0x40400000, v7 :: v_dual_mul_f32 v7, v7, v4
	s_waitcnt lgkmcnt(2)
	v_mul_f32_e32 v22, v22, v15
	v_mul_f32_e32 v4, v4, v26
	v_dual_mul_f32 v21, v9, v26 :: v_dual_mul_f32 v24, v6, v15
	v_mul_f32_e32 v9, 0x40c00000, v9
	v_div_scale_f32 v14, null, v16, v16, v10
	v_mul_f32_e32 v7, v7, v26
	s_delay_alu instid0(VALU_DEP_4) | instskip(SKIP_1) | instid1(VALU_DEP_4)
	v_dual_mul_f32 v21, v6, v21 :: v_dual_fmac_f32 v22, v40, v11
	v_fma_f32 v24, v11, v26, -v24
	v_rcp_f32_e32 v27, v14
	v_mul_f32_e32 v4, v6, v4
	s_delay_alu instid0(VALU_DEP_3) | instskip(NEXT) | instid1(VALU_DEP_3)
	v_div_scale_f32 v28, null, v16, v16, v21
	v_dual_mul_f32 v9, v9, v22 :: v_dual_mul_f32 v12, v12, v24
	v_mul_f32_e32 v7, v6, v7
	s_delay_alu instid0(VALU_DEP_3) | instskip(SKIP_1) | instid1(VALU_DEP_3)
	v_rcp_f32_e32 v24, v28
	v_div_scale_f32 v17, vcc_lo, v10, v16, v10
	v_div_scale_f32 v30, null, v16, v16, v12
	v_div_scale_f32 v32, null, v18, v18, v9
	s_delay_alu instid0(TRANS32_DEP_2) | instskip(SKIP_1) | instid1(VALU_DEP_4)
	v_fma_f32 v22, -v14, v27, 1.0
	v_mul_f32_e32 v4, v37, v4
	v_rcp_f32_e32 v34, v30
	s_delay_alu instid0(VALU_DEP_3) | instskip(NEXT) | instid1(TRANS32_DEP_3)
	v_rcp_f32_e32 v35, v32
	v_fma_f32 v36, -v28, v24, 1.0
	v_fmac_f32_e32 v27, v22, v27
	v_div_scale_f32 v22, null, v18, v18, v4
	v_div_scale_f32 v31, s3, v12, v16, v12
	v_div_scale_f32 v29, s2, v21, v16, v21
	s_delay_alu instid0(VALU_DEP_3) | instskip(SKIP_1) | instid1(TRANS32_DEP_3)
	v_rcp_f32_e32 v37, v22
	v_fmac_f32_e32 v24, v36, v24
	v_fma_f32 v36, -v30, v34, 1.0
	s_delay_alu instid0(TRANS32_DEP_2) | instskip(SKIP_3) | instid1(VALU_DEP_3)
	v_fma_f32 v41, -v32, v35, 1.0
	s_waitcnt lgkmcnt(1)
	v_mul_f32_e32 v6, v6, v8
	v_div_scale_f32 v33, s4, v4, v18, v4
	v_dual_fmac_f32 v34, v36, v34 :: v_dual_fmac_f32 v35, v41, v35
	s_delay_alu instid0(VALU_DEP_3) | instskip(SKIP_2) | instid1(VALU_DEP_4)
	v_fma_f32 v6, v3, v26, -v6
	v_mul_f32_e32 v26, v17, v27
	v_mul_f32_e32 v7, v46, v7
	;; [unrolled: 1-line block ×3, first 2 shown]
	s_delay_alu instid0(VALU_DEP_4) | instskip(NEXT) | instid1(VALU_DEP_4)
	v_dual_add_f32 v11, v11, v15 :: v_dual_mul_f32 v6, v13, v6
	v_fma_f32 v13, -v14, v26, v17
	s_delay_alu instid0(VALU_DEP_4)
	v_div_scale_f32 v38, null, v1, v1, v7
	s_waitcnt lgkmcnt(0)
	v_add_f32_e32 v2, v2, v25
	v_div_scale_f32 v39, s5, v7, v1, v7
	v_fmac_f32_e32 v26, v13, v27
	v_fma_f32 v13, -v22, v37, 1.0
	v_rcp_f32_e32 v40, v38
	v_add_f32_e32 v3, v3, v8
	v_div_scale_f32 v42, null, v16, v16, v6
	s_delay_alu instid0(VALU_DEP_3) | instskip(SKIP_2) | instid1(VALU_DEP_4)
	v_fmac_f32_e32 v37, v13, v37
	v_mul_f32_e32 v43, v29, v24
	v_fma_f32 v14, -v14, v26, v17
	v_rcp_f32_e32 v36, v42
	s_delay_alu instid0(VALU_DEP_3) | instskip(NEXT) | instid1(VALU_DEP_3)
	v_mul_f32_e32 v44, v33, v37
	v_fma_f32 v17, -v28, v43, v29
	s_delay_alu instid0(TRANS32_DEP_2) | instskip(NEXT) | instid1(VALU_DEP_2)
	v_fma_f32 v13, -v38, v40, 1.0
	v_fmac_f32_e32 v43, v17, v24
	s_delay_alu instid0(VALU_DEP_4) | instskip(NEXT) | instid1(VALU_DEP_3)
	v_fma_f32 v17, -v22, v44, v33
	v_fmac_f32_e32 v40, v13, v40
	v_div_fmas_f32 v13, v14, v27, v26
	v_fma_f32 v14, -v30, v41, v31
	s_mov_b32 vcc_lo, s2
	v_fmac_f32_e32 v44, v17, v37
	v_mul_f32_e32 v26, v39, v40
	v_div_fixup_f32 v10, v13, v16, v10
	v_fma_f32 v13, -v28, v43, v29
	v_fmac_f32_e32 v41, v14, v34
	v_fma_f32 v22, -v22, v44, v33
	v_fma_f32 v14, -v38, v26, v39
	v_div_scale_f32 v17, s6, v9, v18, v9
	v_div_fmas_f32 v13, v13, v24, v43
	s_mov_b32 vcc_lo, s4
	s_delay_alu instid0(VALU_DEP_3)
	v_fmac_f32_e32 v26, v14, v40
	v_div_fmas_f32 v22, v22, v37, v44
	v_fma_f32 v24, -v30, v41, v31
	s_mov_b32 vcc_lo, s3
	v_fma_f32 v27, -v42, v36, 1.0
	v_fma_f32 v29, -v38, v26, v39
	v_div_fixup_f32 v4, v22, v18, v4
	v_mul_f32_e32 v14, v17, v35
	v_div_fmas_f32 v24, v24, v34, v41
	s_mov_b32 vcc_lo, s5
	v_fmac_f32_e32 v36, v27, v36
	v_add_f32_e32 v3, v3, v4
	v_fma_f32 v28, -v32, v14, v17
	v_div_fmas_f32 v26, v29, v40, v26
	s_mov_b32 vcc_lo, s6
	v_div_scale_f32 v27, s2, v6, v16, v6
	s_delay_alu instid0(VALU_DEP_3) | instskip(NEXT) | instid1(VALU_DEP_3)
	v_fmac_f32_e32 v14, v28, v35
	v_div_fixup_f32 v1, v26, v1, v7
	v_div_fixup_f32 v4, v24, v16, v12
	s_delay_alu instid0(VALU_DEP_3) | instskip(NEXT) | instid1(VALU_DEP_3)
	v_fma_f32 v15, -v32, v14, v17
	v_add_f32_e32 v1, v2, v1
	s_delay_alu instid0(VALU_DEP_2) | instskip(SKIP_2) | instid1(VALU_DEP_1)
	v_div_fmas_f32 v7, v15, v35, v14
	s_mov_b32 vcc_lo, s2
	s_mov_b32 s2, exec_lo
	v_div_fixup_f32 v2, v7, v18, v9
	s_delay_alu instid0(VALU_DEP_1) | instskip(NEXT) | instid1(VALU_DEP_1)
	v_dual_add_f32 v1, v2, v1 :: v_dual_mul_f32 v30, v27, v36
	v_fma_f32 v28, -v42, v30, v27
	s_delay_alu instid0(VALU_DEP_1) | instskip(NEXT) | instid1(VALU_DEP_1)
	v_fmac_f32_e32 v30, v28, v36
	v_fma_f32 v8, -v42, v30, v27
	s_delay_alu instid0(VALU_DEP_1) | instskip(SKIP_1) | instid1(VALU_DEP_2)
	v_div_fmas_f32 v7, v8, v36, v30
	v_div_fixup_f32 v8, v13, v16, v21
	v_div_fixup_f32 v2, v7, v16, v6
	v_dual_mov_b32 v6, 0 :: v_dual_add_f32 v7, v10, v23
	s_delay_alu instid0(VALU_DEP_3) | instskip(NEXT) | instid1(VALU_DEP_3)
	v_add_f32_e32 v8, v11, v8
	v_dual_add_f32 v10, v4, v3 :: v_dual_add_f32 v11, v2, v1
	ds_bpermute_b32 v1, v6, v16 offset:124
	ds_bpermute_b32 v2, v6, v19 offset:124
	ds_bpermute_b32 v3, v6, v20 offset:124
	ds_bpermute_b32 v4, v6, v7 offset:124
	ds_bpermute_b32 v9, v6, v8 offset:124
	ds_bpermute_b32 v10, v6, v10 offset:124
	ds_bpermute_b32 v11, v6, v11 offset:124
	v_cmpx_eq_u32_e32 0, v5
	s_cbranch_execz .LBB16_96
; %bb.95:
	v_lshrrev_b32_e32 v6, 5, v0
	s_delay_alu instid0(VALU_DEP_1)
	v_mul_u32_u24_e32 v6, 28, v6
	s_waitcnt lgkmcnt(5)
	ds_store_2addr_b32 v6, v1, v2 offset0:56 offset1:57
	s_waitcnt lgkmcnt(4)
	ds_store_2addr_b32 v6, v3, v4 offset0:58 offset1:59
	;; [unrolled: 2-line block ×3, first 2 shown]
	s_waitcnt lgkmcnt(3)
	ds_store_b32 v6, v11 offset:248
.LBB16_96:
	s_or_b32 exec_lo, exec_lo, s2
	s_delay_alu instid0(SALU_CYCLE_1)
	s_mov_b32 s6, exec_lo
	s_waitcnt lgkmcnt(0)
	s_barrier
	buffer_gl0_inv
	v_cmpx_gt_u32_e32 32, v0
	s_cbranch_execz .LBB16_98
; %bb.97:
	v_and_b32_e32 v1, 7, v5
	s_delay_alu instid0(VALU_DEP_1)
	v_mul_u32_u24_e32 v4, 28, v1
	ds_load_2addr_b32 v[2:3], v4 offset0:56 offset1:57
	ds_load_2addr_b32 v[6:7], v4 offset0:58 offset1:59
	;; [unrolled: 1-line block ×3, first 2 shown]
	ds_load_b32 v4, v4 offset:248
	s_waitcnt lgkmcnt(3)
	v_mul_f32_e32 v18, v2, v2
	v_cmp_ne_u32_e32 vcc_lo, 7, v1
	v_add_co_ci_u32_e32 v10, vcc_lo, 0, v5, vcc_lo
	v_cmp_gt_u32_e32 vcc_lo, 6, v1
	s_delay_alu instid0(VALU_DEP_2) | instskip(SKIP_3) | instid1(VALU_DEP_1)
	v_lshlrev_b32_e32 v10, 2, v10
	v_cndmask_b32_e64 v17, 0, 1, vcc_lo
	ds_bpermute_b32 v11, v10, v2
	v_lshlrev_b32_e32 v17, 1, v17
	v_add_lshl_u32 v17, v17, v5, 2
	s_waitcnt lgkmcnt(0)
	v_add_f32_e32 v19, v2, v11
	ds_bpermute_b32 v13, v10, v3
	ds_bpermute_b32 v12, v10, v7
	;; [unrolled: 1-line block ×5, first 2 shown]
	v_mul_f32_e32 v21, v8, v11
	v_fma_f32 v22, -v2, v11, v18
	ds_bpermute_b32 v10, v10, v4
	s_waitcnt lgkmcnt(5)
	v_cmp_gt_f32_e32 vcc_lo, v3, v13
	s_waitcnt lgkmcnt(4)
	v_dual_sub_f32 v12, v12, v7 :: v_dual_cndmask_b32 v3, v3, v13
	s_waitcnt lgkmcnt(3)
	v_cmp_lt_f32_e32 vcc_lo, v6, v14
	s_delay_alu instid0(VALU_DEP_2)
	v_dual_sub_f32 v20, v2, v11 :: v_dual_mul_f32 v25, v12, v12
	s_waitcnt lgkmcnt(1)
	v_add_f32_e32 v13, v8, v15
	v_dual_mul_f32 v23, v11, v11 :: v_dual_cndmask_b32 v6, v6, v14
	v_add_f32_e32 v14, v9, v16
	v_dual_mul_f32 v18, v18, v15 :: v_dual_mul_f32 v27, 0x40400000, v12
	v_mul_f32_e32 v24, v19, v19
	v_dual_mul_f32 v26, v12, v11 :: v_dual_mul_f32 v29, v2, v25
	v_fma_f32 v15, v2, v15, -v21
	v_mul_f32_e32 v21, v12, v25
	v_mul_f32_e32 v9, v9, v11
	v_fmac_f32_e32 v18, v8, v23
	v_mul_f32_e32 v8, 4.0, v12
	v_div_scale_f32 v23, null, v19, v19, v26
	s_delay_alu instid0(VALU_DEP_4) | instskip(SKIP_3) | instid1(VALU_DEP_4)
	v_fma_f32 v9, v2, v16, -v9
	v_dual_fmac_f32 v22, v11, v11 :: v_dual_mul_f32 v25, 0x40c00000, v25
	v_mul_f32_e32 v15, v27, v15
	v_mul_f32_e32 v16, v19, v24
	;; [unrolled: 1-line block ×4, first 2 shown]
	v_rcp_f32_e32 v12, v23
	v_dual_mul_f32 v21, v2, v21 :: v_dual_mul_f32 v18, v25, v18
	s_delay_alu instid0(VALU_DEP_2) | instskip(SKIP_2) | instid1(VALU_DEP_3)
	v_dual_mul_f32 v27, v29, v11 :: v_dual_mul_f32 v2, v2, v9
	v_div_scale_f32 v29, null, v19, v19, v15
	v_div_scale_f32 v28, vcc_lo, v26, v19, v26
	v_mul_f32_e32 v2, v2, v11
	s_delay_alu instid0(VALU_DEP_3) | instskip(NEXT) | instid1(TRANS32_DEP_2)
	v_rcp_f32_e32 v32, v29
	v_fma_f32 v33, -v23, v12, 1.0
	v_mul_f32_e32 v21, v21, v11
	v_div_scale_f32 v31, null, v19, v19, v27
	v_mul_f32_e32 v2, v22, v2
	s_delay_alu instid0(VALU_DEP_4) | instskip(SKIP_1) | instid1(VALU_DEP_4)
	v_fmac_f32_e32 v12, v33, v12
	v_div_scale_f32 v9, null, v24, v24, v18
	v_rcp_f32_e32 v34, v31
	s_delay_alu instid0(TRANS32_DEP_2) | instskip(NEXT) | instid1(VALU_DEP_3)
	v_fma_f32 v33, -v29, v32, 1.0
	v_mul_f32_e32 v36, v28, v12
	v_div_scale_f32 v38, null, v16, v16, v2
	v_rcp_f32_e32 v11, v9
	s_delay_alu instid0(VALU_DEP_3) | instskip(NEXT) | instid1(VALU_DEP_3)
	v_fmac_f32_e32 v32, v33, v32
	v_fma_f32 v39, -v23, v36, v28
	s_delay_alu instid0(VALU_DEP_3) | instskip(SKIP_1) | instid1(TRANS32_DEP_3)
	v_rcp_f32_e32 v33, v38
	v_div_scale_f32 v30, s2, v15, v19, v15
	v_fma_f32 v22, -v31, v34, 1.0
	s_delay_alu instid0(VALU_DEP_3) | instskip(SKIP_3) | instid1(VALU_DEP_4)
	v_fmac_f32_e32 v36, v39, v12
	v_div_scale_f32 v35, s3, v27, v19, v27
	v_mul_f32_e32 v20, v20, v21
	v_div_scale_f32 v25, null, v19, v19, v8
	v_fma_f32 v23, -v23, v36, v28
	s_delay_alu instid0(TRANS32_DEP_1) | instskip(SKIP_1) | instid1(VALU_DEP_2)
	v_fma_f32 v28, -v38, v33, 1.0
	v_div_scale_f32 v39, s5, v2, v16, v2
	v_fmac_f32_e32 v33, v28, v33
	s_delay_alu instid0(VALU_DEP_4) | instskip(SKIP_3) | instid1(VALU_DEP_3)
	v_div_fmas_f32 v12, v23, v12, v36
	v_mul_f32_e32 v23, v30, v32
	v_div_scale_f32 v21, null, v24, v24, v20
	s_mov_b32 vcc_lo, s3
	v_div_fixup_f32 v12, v12, v19, v26
	v_fmac_f32_e32 v34, v22, v34
	s_delay_alu instid0(VALU_DEP_3) | instskip(SKIP_1) | instid1(VALU_DEP_3)
	v_rcp_f32_e32 v37, v21
	v_div_scale_f32 v22, s4, v20, v24, v20
	v_add_f32_e32 v7, v7, v12
	s_delay_alu instid0(VALU_DEP_3) | instskip(SKIP_2) | instid1(VALU_DEP_2)
	v_mul_f32_e32 v40, v35, v34
	s_waitcnt lgkmcnt(0)
	v_add_f32_e32 v4, v4, v10
	v_fma_f32 v42, -v31, v40, v35
	s_waitcnt_depctr 0xfff
	v_fma_f32 v41, -v21, v37, 1.0
	s_delay_alu instid0(VALU_DEP_1) | instskip(SKIP_1) | instid1(VALU_DEP_2)
	v_dual_fmac_f32 v40, v42, v34 :: v_dual_fmac_f32 v37, v41, v37
	v_fma_f32 v41, -v9, v11, 1.0
	v_fma_f32 v28, -v31, v40, v35
	s_delay_alu instid0(VALU_DEP_2) | instskip(NEXT) | instid1(VALU_DEP_2)
	v_fmac_f32_e32 v11, v41, v11
	v_div_fmas_f32 v26, v28, v34, v40
	v_fma_f32 v28, -v29, v23, v30
	s_mov_b32 vcc_lo, s4
	s_delay_alu instid0(VALU_DEP_2) | instskip(NEXT) | instid1(VALU_DEP_2)
	v_div_fixup_f32 v12, v26, v19, v27
	v_fmac_f32_e32 v23, v28, v32
	v_rcp_f32_e32 v26, v25
	v_div_scale_f32 v27, s3, v18, v24, v18
	ds_bpermute_b32 v28, v17, v7
	v_fma_f32 v29, -v29, v23, v30
	ds_bpermute_b32 v30, v17, v19
	v_mul_f32_e32 v42, v22, v37
	v_fma_f32 v34, -v25, v26, 1.0
	s_delay_alu instid0(VALU_DEP_2) | instskip(NEXT) | instid1(VALU_DEP_2)
	v_fma_f32 v31, -v21, v42, v22
	v_fmac_f32_e32 v26, v34, v26
	s_delay_alu instid0(VALU_DEP_2) | instskip(SKIP_1) | instid1(VALU_DEP_2)
	v_fmac_f32_e32 v42, v31, v37
	v_mul_f32_e32 v31, v39, v33
	v_fma_f32 v21, -v21, v42, v22
	s_delay_alu instid0(VALU_DEP_2) | instskip(SKIP_2) | instid1(VALU_DEP_3)
	v_fma_f32 v22, -v38, v31, v39
	s_waitcnt lgkmcnt(1)
	v_sub_f32_e32 v10, v28, v7
	v_div_fmas_f32 v21, v21, v37, v42
	s_delay_alu instid0(VALU_DEP_3) | instskip(SKIP_3) | instid1(VALU_DEP_3)
	v_dual_fmac_f32 v31, v22, v33 :: v_dual_mul_f32 v22, v27, v11
	s_mov_b32 vcc_lo, s2
	v_div_scale_f32 v34, s2, v8, v19, v8
	v_div_fmas_f32 v23, v29, v32, v23
	v_fma_f32 v29, -v38, v31, v39
	s_mov_b32 vcc_lo, s5
	v_fma_f32 v32, -v9, v22, v27
	s_delay_alu instid0(VALU_DEP_3) | instskip(NEXT) | instid1(VALU_DEP_3)
	v_div_fixup_f32 v15, v23, v19, v15
	v_div_fmas_f32 v29, v29, v33, v31
	v_mul_f32_e32 v31, v34, v26
	s_mov_b32 vcc_lo, s3
	s_delay_alu instid0(VALU_DEP_2) | instskip(NEXT) | instid1(VALU_DEP_2)
	v_div_fixup_f32 v2, v29, v16, v2
	v_fma_f32 v16, -v25, v31, v34
	s_waitcnt lgkmcnt(0)
	v_sub_f32_e32 v29, v19, v30
	s_delay_alu instid0(VALU_DEP_3) | instskip(NEXT) | instid1(VALU_DEP_3)
	v_add_f32_e32 v2, v4, v2
	v_fmac_f32_e32 v31, v16, v26
	v_div_fixup_f32 v16, v21, v24, v20
	ds_bpermute_b32 v20, v17, v6
	v_add_f32_e32 v14, v14, v16
	v_fmac_f32_e32 v22, v32, v11
	v_fma_f32 v4, -v25, v31, v34
	v_mul_f32_e32 v16, v10, v10
	s_delay_alu instid0(VALU_DEP_3) | instskip(SKIP_1) | instid1(VALU_DEP_2)
	v_fma_f32 v9, -v9, v22, v27
	v_add_f32_e32 v27, v19, v30
	v_div_fmas_f32 v9, v9, v11, v22
	s_mov_b32 vcc_lo, s2
	v_div_fmas_f32 v4, v4, v26, v31
	s_delay_alu instid0(VALU_DEP_2) | instskip(NEXT) | instid1(VALU_DEP_2)
	v_div_fixup_f32 v9, v9, v24, v18
	v_div_fixup_f32 v4, v4, v19, v8
	v_add_f32_e32 v8, v13, v12
	s_delay_alu instid0(VALU_DEP_3)
	v_add_f32_e32 v2, v9, v2
	v_dual_add_f32 v9, v15, v14 :: v_dual_mul_f32 v14, v10, v16
	ds_bpermute_b32 v22, v17, v8
	v_add_f32_e32 v2, v4, v2
	ds_bpermute_b32 v4, v17, v3
	v_mul_f32_e32 v21, v19, v14
	v_mul_f32_e32 v28, v10, v30
	;; [unrolled: 1-line block ×4, first 2 shown]
	ds_bpermute_b32 v32, v17, v9
	v_mul_f32_e32 v21, v21, v30
	v_div_scale_f32 v11, null, v27, v27, v28
	s_delay_alu instid0(VALU_DEP_2) | instskip(NEXT) | instid1(VALU_DEP_2)
	v_mul_f32_e32 v21, v29, v21
	v_rcp_f32_e32 v18, v11
	s_waitcnt_depctr 0xfff
	v_fma_f32 v13, -v11, v18, 1.0
	s_delay_alu instid0(VALU_DEP_1) | instskip(SKIP_1) | instid1(VALU_DEP_1)
	v_fmac_f32_e32 v18, v13, v18
	v_div_scale_f32 v13, vcc_lo, v28, v27, v28
	v_dual_mul_f32 v12, v19, v16 :: v_dual_mul_f32 v23, v13, v18
	s_delay_alu instid0(VALU_DEP_1) | instskip(NEXT) | instid1(VALU_DEP_2)
	v_mul_f32_e32 v12, v12, v30
	v_fma_f32 v31, -v11, v23, v13
	s_delay_alu instid0(VALU_DEP_2) | instskip(NEXT) | instid1(VALU_DEP_2)
	v_div_scale_f32 v15, null, v27, v27, v12
	v_fmac_f32_e32 v23, v31, v18
	s_delay_alu instid0(VALU_DEP_2) | instskip(NEXT) | instid1(VALU_DEP_1)
	v_rcp_f32_e32 v25, v15
	v_fma_f32 v11, -v11, v23, v13
	v_div_scale_f32 v13, s2, v12, v27, v12
	s_delay_alu instid0(VALU_DEP_2)
	v_div_fmas_f32 v11, v11, v18, v23
	s_waitcnt lgkmcnt(1)
	v_cmp_gt_f32_e32 vcc_lo, v3, v4
	s_waitcnt_depctr 0xfff
	v_fma_f32 v29, -v15, v25, 1.0
	v_cndmask_b32_e32 v3, v3, v4, vcc_lo
	v_div_fixup_f32 v11, v11, v27, v28
	s_delay_alu instid0(VALU_DEP_3) | instskip(SKIP_1) | instid1(VALU_DEP_2)
	v_fmac_f32_e32 v25, v29, v25
	s_mov_b32 vcc_lo, s2
	v_dual_mul_f32 v4, v8, v30 :: v_dual_add_f32 v7, v7, v11
	v_add_f32_e32 v11, v8, v22
	v_div_scale_f32 v31, null, v26, v26, v21
	v_dual_mul_f32 v33, v27, v26 :: v_dual_mul_f32 v18, v13, v25
	s_delay_alu instid0(VALU_DEP_4) | instskip(NEXT) | instid1(VALU_DEP_3)
	v_fma_f32 v4, v19, v22, -v4
	v_rcp_f32_e32 v29, v31
	v_mul_f32_e32 v22, v24, v22
	s_delay_alu instid0(VALU_DEP_3) | instskip(NEXT) | instid1(VALU_DEP_1)
	v_fma_f32 v23, -v15, v18, v13
	v_fmac_f32_e32 v18, v23, v25
	v_div_scale_f32 v23, s3, v21, v26, v21
	s_waitcnt_depctr 0xfff
	v_fma_f32 v28, -v31, v29, 1.0
	v_fma_f32 v13, -v15, v18, v13
	s_delay_alu instid0(VALU_DEP_2) | instskip(SKIP_1) | instid1(VALU_DEP_3)
	v_fmac_f32_e32 v29, v28, v29
	v_fma_f32 v28, -v19, v30, v24
	v_div_fmas_f32 v13, v13, v25, v18
	v_cmp_gt_u32_e32 vcc_lo, 4, v1
	s_delay_alu instid0(VALU_DEP_4) | instskip(SKIP_3) | instid1(VALU_DEP_3)
	v_dual_mul_f32 v18, v30, v30 :: v_dual_mul_f32 v15, v23, v29
	v_mul_f32_e32 v16, 0x40c00000, v16
	v_cndmask_b32_e64 v1, 0, 1, vcc_lo
	s_mov_b32 vcc_lo, s3
	v_fma_f32 v24, -v31, v15, v23
	s_delay_alu instid0(VALU_DEP_2) | instskip(SKIP_1) | instid1(VALU_DEP_3)
	v_lshlrev_b32_e32 v1, 2, v1
	v_div_fixup_f32 v12, v13, v27, v12
	v_fmac_f32_e32 v15, v24, v29
	s_delay_alu instid0(VALU_DEP_3) | instskip(NEXT) | instid1(VALU_DEP_2)
	v_add_lshl_u32 v37, v1, v5, 2
	v_fma_f32 v23, -v31, v15, v23
	s_delay_alu instid0(VALU_DEP_1)
	v_div_fmas_f32 v15, v23, v29, v15
	ds_bpermute_b32 v29, v37, v27
	v_fmac_f32_e32 v22, v18, v8
	s_waitcnt lgkmcnt(1)
	v_add_f32_e32 v18, v9, v32
	v_mul_f32_e32 v9, v9, v30
	ds_bpermute_b32 v23, v37, v7
	v_div_fixup_f32 v15, v15, v26, v21
	v_mul_f32_e32 v16, v16, v22
	v_fma_f32 v9, v19, v32, -v9
	s_delay_alu instid0(VALU_DEP_2) | instskip(SKIP_1) | instid1(VALU_DEP_2)
	v_div_scale_f32 v22, null, v26, v26, v16
	v_div_scale_f32 v1, s5, v16, v26, v16
	v_rcp_f32_e32 v31, v22
	s_waitcnt_depctr 0xfff
	v_fma_f32 v32, -v22, v31, 1.0
	v_mul_f32_e32 v14, v10, v14
	s_delay_alu instid0(VALU_DEP_2) | instskip(NEXT) | instid1(VALU_DEP_1)
	v_dual_mul_f32 v10, 4.0, v10 :: v_dual_fmac_f32 v31, v32, v31
	v_mul_f32_e32 v9, v10, v9
	ds_bpermute_b32 v17, v17, v2
	v_div_scale_f32 v36, null, v27, v27, v9
	s_delay_alu instid0(VALU_DEP_1) | instskip(SKIP_4) | instid1(VALU_DEP_3)
	v_rcp_f32_e32 v32, v36
	s_waitcnt lgkmcnt(0)
	v_dual_add_f32 v2, v2, v17 :: v_dual_sub_f32 v17, v23, v7
	v_mul_f32_e32 v14, v19, v14
	v_mul_f32_e32 v4, v34, v4
	v_dual_fmac_f32 v28, v30, v30 :: v_dual_mul_f32 v23, v17, v29
	s_delay_alu instid0(VALU_DEP_3) | instskip(NEXT) | instid1(VALU_DEP_3)
	v_mul_f32_e32 v14, v14, v30
	v_div_scale_f32 v34, null, v27, v27, v4
	s_delay_alu instid0(VALU_DEP_2) | instskip(NEXT) | instid1(VALU_DEP_2)
	v_mul_f32_e32 v14, v28, v14
	v_rcp_f32_e32 v35, v34
	s_delay_alu instid0(VALU_DEP_1) | instskip(SKIP_1) | instid1(VALU_DEP_2)
	v_div_scale_f32 v25, null, v33, v33, v14
	v_div_scale_f32 v19, s4, v14, v33, v14
	v_rcp_f32_e32 v28, v25
	s_waitcnt_depctr 0xfff
	v_fma_f32 v8, -v34, v35, 1.0
	s_delay_alu instid0(VALU_DEP_1) | instskip(SKIP_1) | instid1(VALU_DEP_1)
	v_fmac_f32_e32 v35, v8, v35
	v_div_scale_f32 v8, s2, v4, v27, v4
	s_mov_b32 vcc_lo, s2
	v_fma_f32 v24, -v25, v28, 1.0
	s_delay_alu instid0(VALU_DEP_2) | instskip(NEXT) | instid1(VALU_DEP_2)
	v_mul_f32_e32 v30, v8, v35
	v_fmac_f32_e32 v28, v24, v28
	s_delay_alu instid0(VALU_DEP_2) | instskip(NEXT) | instid1(VALU_DEP_2)
	v_fma_f32 v24, -v34, v30, v8
	v_mul_f32_e32 v10, v19, v28
	s_delay_alu instid0(VALU_DEP_2) | instskip(NEXT) | instid1(VALU_DEP_2)
	v_fmac_f32_e32 v30, v24, v35
	v_fma_f32 v24, -v25, v10, v19
	s_delay_alu instid0(VALU_DEP_2) | instskip(SKIP_1) | instid1(VALU_DEP_3)
	v_fma_f32 v8, -v34, v30, v8
	v_fma_f32 v34, -v36, v32, 1.0
	v_fmac_f32_e32 v10, v24, v28
	v_mul_f32_e32 v24, v1, v31
	s_delay_alu instid0(VALU_DEP_4) | instskip(NEXT) | instid1(VALU_DEP_4)
	v_div_fmas_f32 v8, v8, v35, v30
	v_fmac_f32_e32 v32, v34, v32
	v_div_scale_f32 v30, s2, v9, v27, v9
	v_fma_f32 v19, -v25, v10, v19
	v_fma_f32 v25, -v22, v24, v1
	s_mov_b32 vcc_lo, s4
	v_div_fixup_f32 v4, v8, v27, v4
	s_delay_alu instid0(VALU_DEP_3) | instskip(NEXT) | instid1(VALU_DEP_3)
	v_div_fmas_f32 v10, v19, v28, v10
	v_dual_fmac_f32 v24, v25, v31 :: v_dual_mul_f32 v19, v30, v32
	s_mov_b32 vcc_lo, s5
	s_delay_alu instid0(VALU_DEP_2) | instskip(NEXT) | instid1(VALU_DEP_2)
	v_div_fixup_f32 v10, v10, v33, v14
	v_fma_f32 v14, -v22, v24, v1
	s_delay_alu instid0(VALU_DEP_3) | instskip(NEXT) | instid1(VALU_DEP_3)
	v_fma_f32 v22, -v36, v19, v30
	v_dual_add_f32 v1, v27, v29 :: v_dual_add_f32 v2, v2, v10
	s_delay_alu instid0(VALU_DEP_3) | instskip(NEXT) | instid1(VALU_DEP_3)
	v_div_fmas_f32 v14, v14, v31, v24
	v_fmac_f32_e32 v19, v22, v32
	s_mov_b32 vcc_lo, s2
	s_delay_alu instid0(VALU_DEP_3) | instskip(SKIP_1) | instid1(VALU_DEP_3)
	v_div_scale_f32 v22, null, v1, v1, v23
	v_sub_f32_e32 v31, v27, v29
	v_fma_f32 v10, -v36, v19, v30
	v_add_f32_e32 v13, v18, v15
	s_delay_alu instid0(VALU_DEP_2) | instskip(SKIP_1) | instid1(VALU_DEP_2)
	v_div_fmas_f32 v10, v10, v32, v19
	v_cmp_lt_f32_e32 vcc_lo, v6, v20
	v_div_fixup_f32 v8, v10, v27, v9
	v_dual_add_f32 v10, v11, v12 :: v_dual_mul_f32 v11, v17, v17
	v_cndmask_b32_e32 v6, v6, v20, vcc_lo
	v_mul_f32_e32 v20, v1, v1
	s_delay_alu instid0(VALU_DEP_3) | instskip(SKIP_2) | instid1(VALU_DEP_3)
	v_mul_f32_e32 v19, v17, v11
	v_mul_f32_e32 v12, v27, v11
	;; [unrolled: 1-line block ×5, first 2 shown]
	v_div_fixup_f32 v14, v14, v26, v16
	v_rcp_f32_e32 v16, v22
	s_delay_alu instid0(VALU_DEP_3) | instskip(NEXT) | instid1(VALU_DEP_2)
	v_mul_f32_e32 v25, v25, v29
	v_dual_mul_f32 v19, v27, v19 :: v_dual_add_f32 v2, v14, v2
	s_delay_alu instid0(VALU_DEP_1) | instskip(SKIP_3) | instid1(VALU_DEP_2)
	v_dual_mul_f32 v19, v19, v29 :: v_dual_add_f32 v8, v8, v2
	s_waitcnt_depctr 0xfff
	v_fma_f32 v9, -v22, v16, 1.0
	v_div_scale_f32 v2, vcc_lo, v23, v1, v23
	v_fmac_f32_e32 v16, v9, v16
	ds_bpermute_b32 v9, v37, v3
	v_mul_f32_e32 v15, v2, v16
	s_delay_alu instid0(VALU_DEP_1) | instskip(NEXT) | instid1(VALU_DEP_1)
	v_fma_f32 v21, -v22, v15, v2
	v_fmac_f32_e32 v15, v21, v16
	s_delay_alu instid0(VALU_DEP_1) | instskip(SKIP_2) | instid1(VALU_DEP_1)
	v_fma_f32 v22, -v22, v15, v2
	s_waitcnt lgkmcnt(0)
	v_cmp_gt_f32_e64 s2, v3, v9
	v_cndmask_b32_e64 v2, v3, v9, s2
	v_mul_f32_e32 v3, v31, v25
	v_div_fmas_f32 v9, v22, v16, v15
	v_mul_f32_e32 v25, 0x40400000, v17
	v_mul_f32_e32 v17, 4.0, v17
	v_mul_f32_e32 v12, v12, v29
	v_div_scale_f32 v22, null, v20, v20, v3
	v_div_fixup_f32 v9, v9, v1, v23
	s_delay_alu instid0(VALU_DEP_2) | instskip(SKIP_2) | instid1(VALU_DEP_1)
	v_rcp_f32_e32 v31, v22
	s_waitcnt_depctr 0xfff
	v_fma_f32 v34, -v22, v31, 1.0
	v_fmac_f32_e32 v31, v34, v31
	ds_bpermute_b32 v14, v37, v10
	v_mul_f32_e32 v15, v10, v29
	s_waitcnt lgkmcnt(0)
	s_delay_alu instid0(VALU_DEP_1) | instskip(NEXT) | instid1(VALU_DEP_1)
	v_fma_f32 v15, v27, v14, -v15
	v_mul_f32_e32 v15, v25, v15
	v_fma_f32 v25, -v27, v29, v26
	v_mul_f32_e32 v26, v26, v14
	s_delay_alu instid0(VALU_DEP_3) | instskip(NEXT) | instid1(VALU_DEP_3)
	v_div_scale_f32 v33, null, v1, v1, v15
	v_fmac_f32_e32 v25, v29, v29
	s_delay_alu instid0(VALU_DEP_2) | instskip(NEXT) | instid1(VALU_DEP_1)
	v_rcp_f32_e32 v35, v33
	v_mul_f32_e32 v19, v25, v19
	v_mul_f32_e32 v25, v29, v29
	s_delay_alu instid0(VALU_DEP_1)
	v_fmac_f32_e32 v26, v25, v10
	v_add_f32_e32 v4, v4, v13
	s_waitcnt_depctr 0xfff
	v_fma_f32 v36, -v33, v35, 1.0
	ds_bpermute_b32 v13, v37, v6
	v_add_f32_e32 v10, v10, v14
	v_mul_f32_e32 v11, v11, v26
	ds_bpermute_b32 v18, v37, v4
	v_mul_f32_e32 v29, v4, v29
	v_fmac_f32_e32 v35, v36, v35
	v_div_scale_f32 v36, s3, v15, v1, v15
	s_waitcnt lgkmcnt(0)
	s_delay_alu instid0(VALU_DEP_3) | instskip(NEXT) | instid1(VALU_DEP_2)
	v_fma_f32 v27, v27, v18, -v29
	v_mul_f32_e32 v29, v36, v35
	v_div_scale_f32 v26, null, v20, v20, v11
	v_mul_f32_e32 v30, v1, v20
	s_delay_alu instid0(VALU_DEP_4) | instskip(SKIP_1) | instid1(VALU_DEP_4)
	v_mul_f32_e32 v17, v17, v27
	v_div_scale_f32 v24, null, v1, v1, v12
	v_rcp_f32_e32 v39, v26
	s_delay_alu instid0(VALU_DEP_3) | instskip(NEXT) | instid1(VALU_DEP_2)
	v_div_scale_f32 v34, null, v30, v30, v19
	v_rcp_f32_e32 v21, v24
	v_div_scale_f32 v25, s2, v3, v20, v3
	v_div_scale_f32 v40, null, v1, v1, v17
	v_div_scale_f32 v42, s5, v11, v20, v11
	v_add_f32_e32 v4, v4, v18
	s_waitcnt_depctr 0xfff
	v_fma_f32 v16, -v24, v21, 1.0
	s_delay_alu instid0(VALU_DEP_1) | instskip(SKIP_1) | instid1(VALU_DEP_1)
	v_fmac_f32_e32 v21, v16, v21
	v_div_scale_f32 v16, vcc_lo, v12, v1, v12
	v_mul_f32_e32 v32, v16, v21
	s_delay_alu instid0(VALU_DEP_1) | instskip(NEXT) | instid1(VALU_DEP_1)
	v_fma_f32 v23, -v24, v32, v16
	v_dual_fmac_f32 v32, v23, v21 :: v_dual_mul_f32 v23, v25, v31
	ds_bpermute_b32 v28, v37, v8
	v_rcp_f32_e32 v37, v34
	v_fma_f32 v16, -v24, v32, v16
	v_fma_f32 v24, -v22, v23, v25
	s_delay_alu instid0(VALU_DEP_1) | instskip(SKIP_4) | instid1(VALU_DEP_2)
	v_fmac_f32_e32 v23, v24, v31
	v_fma_f32 v24, -v33, v29, v36
	s_waitcnt_depctr 0xfff
	v_fma_f32 v38, -v34, v37, 1.0
	v_fmac_f32_e32 v29, v24, v35
	v_fmac_f32_e32 v37, v38, v37
	v_fma_f32 v38, -v26, v39, 1.0
	v_div_scale_f32 v27, s4, v19, v30, v19
	v_div_fmas_f32 v16, v16, v21, v32
	v_fma_f32 v21, -v22, v23, v25
	s_delay_alu instid0(VALU_DEP_4)
	v_fmac_f32_e32 v39, v38, v39
	v_rcp_f32_e32 v38, v40
	v_mul_f32_e32 v41, v27, v37
	s_mov_b32 vcc_lo, s2
	v_div_fixup_f32 v12, v16, v1, v12
	v_mul_f32_e32 v24, v42, v39
	v_div_fmas_f32 v21, v21, v31, v23
	v_fma_f32 v22, -v34, v41, v27
	v_fma_f32 v23, -v33, v29, v36
	s_mov_b32 vcc_lo, s3
	s_delay_alu instid0(TRANS32_DEP_1) | instskip(NEXT) | instid1(VALU_DEP_3)
	v_fma_f32 v25, -v40, v38, 1.0
	v_fmac_f32_e32 v41, v22, v37
	v_fma_f32 v22, -v26, v24, v42
	v_div_fmas_f32 v23, v23, v35, v29
	s_mov_b32 vcc_lo, s4
	v_fmac_f32_e32 v38, v25, v38
	v_div_scale_f32 v25, s2, v17, v1, v17
	v_fma_f32 v27, -v34, v41, v27
	v_fmac_f32_e32 v24, v22, v39
	v_div_fixup_f32 v3, v21, v20, v3
	s_delay_alu instid0(VALU_DEP_4)
	v_mul_f32_e32 v29, v25, v38
	v_div_fixup_f32 v15, v23, v1, v15
	v_div_fmas_f32 v22, v27, v37, v41
	v_fma_f32 v14, -v26, v24, v42
	s_mov_b32 vcc_lo, s5
	v_fma_f32 v27, -v40, v29, v25
	s_waitcnt lgkmcnt(0)
	v_add_f32_e32 v8, v8, v28
	v_div_fixup_f32 v19, v22, v30, v19
	v_div_fmas_f32 v14, v14, v39, v24
	s_mov_b32 vcc_lo, s2
	v_dual_fmac_f32 v29, v27, v38 :: v_dual_add_f32 v16, v4, v3
	s_delay_alu instid0(VALU_DEP_3) | instskip(NEXT) | instid1(VALU_DEP_3)
	v_add_f32_e32 v8, v8, v19
	v_div_fixup_f32 v11, v14, v20, v11
	v_add_f32_e32 v4, v7, v9
	s_delay_alu instid0(VALU_DEP_4) | instskip(NEXT) | instid1(VALU_DEP_3)
	v_fma_f32 v18, -v40, v29, v25
	v_add_f32_e32 v8, v11, v8
	s_delay_alu instid0(VALU_DEP_2) | instskip(SKIP_1) | instid1(VALU_DEP_2)
	v_div_fmas_f32 v14, v18, v38, v29
	v_cmp_lt_f32_e32 vcc_lo, v6, v13
	v_div_fixup_f32 v11, v14, v1, v17
	v_cndmask_b32_e32 v3, v6, v13, vcc_lo
	s_delay_alu instid0(VALU_DEP_2)
	v_add_f32_e32 v11, v11, v8
	v_add_f32_e32 v9, v10, v12
	;; [unrolled: 1-line block ×3, first 2 shown]
.LBB16_98:
	s_or_b32 exec_lo, exec_lo, s6
	s_branch .LBB16_126
.LBB16_99:
                                        ; implicit-def: $vgpr14
                                        ; implicit-def: $vgpr8
                                        ; implicit-def: $sgpr10_sgpr11
.LBB16_100:
	s_and_saveexec_b32 s2, s19
	s_cbranch_execnz .LBB16_131
.LBB16_101:
	s_endpgm
.LBB16_102:
                                        ; implicit-def: $vgpr1
                                        ; implicit-def: $vgpr9
	s_cbranch_execz .LBB16_126
; %bb.103:
	s_sub_i32 s2, s22, s8
	s_mov_b32 s3, exec_lo
                                        ; implicit-def: $vgpr9
                                        ; implicit-def: $vgpr4
	v_cmpx_gt_u32_e64 s2, v0
	s_cbranch_execz .LBB16_105
; %bb.104:
	s_mul_i32 s4, s8, 28
	s_mul_hi_u32 s5, s8, 28
	s_add_u32 s4, s20, s4
	s_addc_u32 s5, s21, s5
	s_waitcnt lgkmcnt(1)
	v_mad_u64_u32 v[6:7], null, v0, 28, s[4:5]
	s_clause 0x1
	global_load_b128 v[1:4], v[6:7], off
	global_load_b96 v[9:11], v[6:7], off offset:16
.LBB16_105:
	s_or_b32 exec_lo, exec_lo, s3
	v_cmp_ne_u32_e32 vcc_lo, 31, v5
	s_min_u32 s6, s2, 0x100
	v_add_nc_u32_e32 v17, 1, v5
	s_mov_b32 s7, exec_lo
	v_add_co_ci_u32_e32 v6, vcc_lo, 0, v5, vcc_lo
	s_delay_alu instid0(VALU_DEP_1)
	v_lshlrev_b32_e32 v6, 2, v6
	s_waitcnt vmcnt(1)
	ds_bpermute_b32 v13, v6, v1
	s_waitcnt lgkmcnt(4)
	ds_bpermute_b32 v15, v6, v2
	s_waitcnt lgkmcnt(3)
	ds_bpermute_b32 v7, v6, v3
	ds_bpermute_b32 v16, v6, v4
	s_waitcnt vmcnt(0)
	ds_bpermute_b32 v14, v6, v9
	s_waitcnt lgkmcnt(5)
	ds_bpermute_b32 v12, v6, v10
	ds_bpermute_b32 v8, v6, v11
	v_and_b32_e32 v6, 0xe0, v0
	s_delay_alu instid0(VALU_DEP_1) | instskip(NEXT) | instid1(VALU_DEP_1)
	v_sub_nc_u32_e64 v6, s6, v6 clamp
	v_cmpx_lt_u32_e64 v17, v6
	s_cbranch_execz .LBB16_107
; %bb.106:
	s_waitcnt lgkmcnt(3)
	v_dual_sub_f32 v16, v16, v4 :: v_dual_add_f32 v17, v1, v13
	v_cmp_gt_f32_e32 vcc_lo, v2, v15
	s_waitcnt lgkmcnt(0)
	v_add_f32_e32 v8, v11, v8
	s_delay_alu instid0(VALU_DEP_3) | instskip(SKIP_3) | instid1(VALU_DEP_4)
	v_dual_sub_f32 v20, v1, v13 :: v_dual_mul_f32 v19, v16, v16
	v_mul_f32_e32 v18, v16, v13
	v_mul_f32_e32 v21, v9, v13
	v_dual_mul_f32 v25, v17, v17 :: v_dual_mul_f32 v28, 0x40400000, v16
	v_mul_f32_e32 v23, v1, v19
	s_delay_alu instid0(VALU_DEP_4) | instskip(SKIP_2) | instid1(VALU_DEP_4)
	v_div_scale_f32 v22, null, v17, v17, v18
	v_mul_f32_e32 v26, v16, v19
	v_fma_f32 v21, v1, v14, -v21
	v_mul_f32_e32 v23, v23, v13
	s_delay_alu instid0(VALU_DEP_4)
	v_rcp_f32_e32 v27, v22
	v_dual_cndmask_b32 v2, v2, v15 :: v_dual_add_f32 v15, v9, v14
	v_mul_f32_e32 v29, v1, v26
	v_mul_f32_e32 v26, v16, v26
	v_div_scale_f32 v30, null, v17, v17, v23
	v_div_scale_f32 v35, vcc_lo, v18, v17, v18
	s_delay_alu instid0(VALU_DEP_3) | instskip(NEXT) | instid1(VALU_DEP_3)
	v_mul_f32_e32 v26, v1, v26
	v_rcp_f32_e32 v34, v30
	s_delay_alu instid0(TRANS32_DEP_2) | instskip(SKIP_1) | instid1(VALU_DEP_3)
	v_fma_f32 v33, -v22, v27, 1.0
	v_div_scale_f32 v36, s2, v23, v17, v23
	v_dual_mul_f32 v26, v26, v13 :: v_dual_mul_f32 v19, 0x40c00000, v19
	s_delay_alu instid0(VALU_DEP_3) | instskip(SKIP_3) | instid1(VALU_DEP_1)
	v_fmac_f32_e32 v27, v33, v27
	v_mul_f32_e32 v24, v1, v1
	s_waitcnt_depctr 0xfff
	v_fma_f32 v33, -v30, v34, 1.0
	v_dual_mul_f32 v21, v28, v21 :: v_dual_fmac_f32 v34, v33, v34
	v_mul_f32_e32 v29, v29, v13
	s_delay_alu instid0(VALU_DEP_2) | instskip(NEXT) | instid1(VALU_DEP_2)
	v_div_scale_f32 v33, null, v17, v17, v21
	v_dual_mul_f32 v20, v20, v29 :: v_dual_mul_f32 v29, v35, v27
	v_fma_f32 v31, -v1, v13, v24
	v_mul_f32_e32 v14, v24, v14
	s_delay_alu instid0(VALU_DEP_4) | instskip(NEXT) | instid1(VALU_DEP_3)
	v_rcp_f32_e32 v39, v33
	v_div_scale_f32 v28, null, v25, v25, v20
	v_fma_f32 v38, -v22, v29, v35
	v_mul_f32_e32 v32, v17, v25
	v_fmac_f32_e32 v31, v13, v13
	s_delay_alu instid0(VALU_DEP_4) | instskip(NEXT) | instid1(VALU_DEP_3)
	v_rcp_f32_e32 v37, v28
	v_dual_fmac_f32 v29, v38, v27 :: v_dual_mul_f32 v38, v36, v34
	s_delay_alu instid0(VALU_DEP_2) | instskip(SKIP_1) | instid1(VALU_DEP_3)
	v_mul_f32_e32 v26, v31, v26
	v_div_scale_f32 v31, s4, v21, v17, v21
	v_fma_f32 v22, -v22, v29, v35
	s_delay_alu instid0(VALU_DEP_4)
	v_fma_f32 v35, -v30, v38, v36
	s_waitcnt_depctr 0xfff
	v_fma_f32 v40, -v28, v37, 1.0
	v_fmac_f32_e32 v38, v35, v34
	v_div_fmas_f32 v22, v22, v27, v29
	v_mul_f32_e32 v27, v13, v13
	v_div_scale_f32 v24, null, v32, v32, v26
	v_fmac_f32_e32 v37, v40, v37
	s_delay_alu instid0(VALU_DEP_3) | instskip(NEXT) | instid1(VALU_DEP_3)
	v_dual_mul_f32 v13, v10, v13 :: v_dual_fmac_f32 v14, v9, v27
	v_rcp_f32_e32 v29, v24
	v_div_scale_f32 v9, s3, v20, v25, v20
	v_fma_f32 v27, -v33, v39, 1.0
	s_delay_alu instid0(VALU_DEP_3) | instskip(SKIP_1) | instid1(VALU_DEP_2)
	v_fma_f32 v1, v1, v12, -v13
	s_mov_b32 vcc_lo, s2
	v_fmac_f32_e32 v39, v27, v39
	s_waitcnt_depctr 0xfff
	v_fma_f32 v35, -v24, v29, 1.0
	s_delay_alu instid0(VALU_DEP_1) | instskip(NEXT) | instid1(VALU_DEP_1)
	v_dual_mul_f32 v16, 4.0, v16 :: v_dual_fmac_f32 v29, v35, v29
	v_dual_mul_f32 v14, v19, v14 :: v_dual_mul_f32 v1, v16, v1
	v_fma_f32 v19, -v30, v38, v36
	v_mul_f32_e32 v30, v9, v37
	v_div_scale_f32 v36, s2, v26, v32, v26
	s_delay_alu instid0(VALU_DEP_4) | instskip(NEXT) | instid1(VALU_DEP_3)
	v_div_scale_f32 v27, null, v25, v25, v14
	v_fma_f32 v16, -v28, v30, v9
	v_div_scale_f32 v35, null, v17, v17, v1
	s_delay_alu instid0(VALU_DEP_3) | instskip(SKIP_1) | instid1(VALU_DEP_3)
	v_rcp_f32_e32 v13, v27
	v_div_fmas_f32 v19, v19, v34, v38
	v_fmac_f32_e32 v30, v16, v37
	s_delay_alu instid0(VALU_DEP_3) | instskip(SKIP_2) | instid1(VALU_DEP_2)
	v_rcp_f32_e32 v40, v35
	v_dual_mul_f32 v34, v31, v39 :: v_dual_mul_f32 v41, v36, v29
	s_mov_b32 vcc_lo, s3
	v_fma_f32 v9, -v28, v30, v9
	v_add_f32_e32 v10, v10, v12
	s_delay_alu instid0(VALU_DEP_3) | instskip(NEXT) | instid1(TRANS32_DEP_2)
	v_fma_f32 v16, -v33, v34, v31
	v_fma_f32 v38, -v27, v13, 1.0
	v_fma_f32 v12, -v24, v41, v36
	v_div_fmas_f32 v9, v9, v37, v30
	s_delay_alu instid0(TRANS32_DEP_1) | instskip(NEXT) | instid1(VALU_DEP_4)
	v_fma_f32 v28, -v35, v40, 1.0
	v_dual_fmac_f32 v34, v16, v39 :: v_dual_fmac_f32 v13, v38, v13
	v_div_scale_f32 v38, s5, v14, v25, v14
	s_delay_alu instid0(VALU_DEP_4) | instskip(SKIP_3) | instid1(VALU_DEP_4)
	v_div_fixup_f32 v9, v9, v25, v20
	v_fmac_f32_e32 v41, v12, v29
	v_fmac_f32_e32 v40, v28, v40
	v_div_scale_f32 v28, s3, v1, v17, v1
	v_add_f32_e32 v9, v10, v9
	v_mul_f32_e32 v16, v38, v13
	v_fma_f32 v30, -v33, v34, v31
	s_delay_alu instid0(VALU_DEP_4)
	v_mul_f32_e32 v31, v28, v40
	v_fma_f32 v24, -v24, v41, v36
	s_mov_b32 vcc_lo, s4
	v_fma_f32 v12, -v27, v16, v38
	v_div_fmas_f32 v30, v30, v39, v34
	s_mov_b32 vcc_lo, s2
	s_delay_alu instid0(VALU_DEP_2) | instskip(SKIP_3) | instid1(VALU_DEP_3)
	v_fmac_f32_e32 v16, v12, v13
	v_div_fmas_f32 v12, v24, v29, v41
	v_fma_f32 v24, -v35, v31, v28
	s_mov_b32 vcc_lo, s5
	v_fma_f32 v11, -v27, v16, v38
	s_delay_alu instid0(VALU_DEP_3) | instskip(NEXT) | instid1(VALU_DEP_3)
	v_div_fixup_f32 v12, v12, v32, v26
	v_fmac_f32_e32 v31, v24, v40
	s_delay_alu instid0(VALU_DEP_3) | instskip(SKIP_1) | instid1(VALU_DEP_2)
	v_div_fmas_f32 v11, v11, v13, v16
	s_mov_b32 vcc_lo, s3
	v_fma_f32 v10, -v35, v31, v28
	v_div_fixup_f32 v13, v19, v17, v23
	v_add_f32_e32 v8, v8, v12
	v_div_fixup_f32 v11, v11, v25, v14
	v_div_fixup_f32 v12, v30, v17, v21
	v_div_fmas_f32 v10, v10, v40, v31
	v_add_f32_e32 v13, v15, v13
	v_div_fixup_f32 v14, v22, v17, v18
	v_add_f32_e32 v8, v11, v8
	v_cmp_lt_f32_e32 vcc_lo, v3, v7
	v_div_fixup_f32 v1, v10, v17, v1
	v_add_f32_e32 v10, v12, v9
	v_dual_add_f32 v4, v4, v14 :: v_dual_mov_b32 v9, v13
	v_cndmask_b32_e32 v3, v3, v7, vcc_lo
	s_delay_alu instid0(VALU_DEP_4)
	v_add_f32_e32 v11, v1, v8
	v_mov_b32_e32 v1, v17
.LBB16_107:
	s_or_b32 exec_lo, exec_lo, s7
	v_cmp_gt_u32_e32 vcc_lo, 30, v5
	v_add_nc_u32_e32 v17, 2, v5
	s_mov_b32 s7, exec_lo
	s_waitcnt lgkmcnt(4)
	v_cndmask_b32_e64 v7, 0, 1, vcc_lo
	s_delay_alu instid0(VALU_DEP_1) | instskip(SKIP_1) | instid1(VALU_DEP_1)
	v_lshlrev_b32_e32 v7, 1, v7
	s_waitcnt lgkmcnt(0)
	v_add_lshl_u32 v8, v7, v5, 2
	ds_bpermute_b32 v13, v8, v1
	ds_bpermute_b32 v15, v8, v2
	;; [unrolled: 1-line block ×7, first 2 shown]
	v_cmpx_lt_u32_e64 v17, v6
	s_cbranch_execz .LBB16_109
; %bb.108:
	s_waitcnt lgkmcnt(3)
	v_dual_sub_f32 v16, v16, v4 :: v_dual_add_f32 v17, v1, v13
	v_cmp_gt_f32_e32 vcc_lo, v2, v15
	s_waitcnt lgkmcnt(0)
	v_add_f32_e32 v8, v11, v8
	s_delay_alu instid0(VALU_DEP_3) | instskip(SKIP_3) | instid1(VALU_DEP_4)
	v_dual_sub_f32 v20, v1, v13 :: v_dual_mul_f32 v19, v16, v16
	v_mul_f32_e32 v18, v16, v13
	v_mul_f32_e32 v21, v9, v13
	v_dual_mul_f32 v25, v17, v17 :: v_dual_mul_f32 v28, 0x40400000, v16
	v_mul_f32_e32 v23, v1, v19
	s_delay_alu instid0(VALU_DEP_4) | instskip(SKIP_2) | instid1(VALU_DEP_4)
	v_div_scale_f32 v22, null, v17, v17, v18
	v_mul_f32_e32 v26, v16, v19
	v_fma_f32 v21, v1, v14, -v21
	v_mul_f32_e32 v23, v23, v13
	s_delay_alu instid0(VALU_DEP_4)
	v_rcp_f32_e32 v27, v22
	v_dual_cndmask_b32 v2, v2, v15 :: v_dual_add_f32 v15, v9, v14
	v_mul_f32_e32 v29, v1, v26
	v_mul_f32_e32 v26, v16, v26
	v_div_scale_f32 v30, null, v17, v17, v23
	v_div_scale_f32 v35, vcc_lo, v18, v17, v18
	s_delay_alu instid0(VALU_DEP_3) | instskip(NEXT) | instid1(VALU_DEP_3)
	v_mul_f32_e32 v26, v1, v26
	v_rcp_f32_e32 v34, v30
	s_delay_alu instid0(TRANS32_DEP_2) | instskip(SKIP_1) | instid1(VALU_DEP_3)
	v_fma_f32 v33, -v22, v27, 1.0
	v_div_scale_f32 v36, s2, v23, v17, v23
	v_dual_mul_f32 v26, v26, v13 :: v_dual_mul_f32 v19, 0x40c00000, v19
	s_delay_alu instid0(VALU_DEP_3) | instskip(SKIP_3) | instid1(VALU_DEP_1)
	v_fmac_f32_e32 v27, v33, v27
	v_mul_f32_e32 v24, v1, v1
	s_waitcnt_depctr 0xfff
	v_fma_f32 v33, -v30, v34, 1.0
	v_dual_mul_f32 v21, v28, v21 :: v_dual_fmac_f32 v34, v33, v34
	v_mul_f32_e32 v29, v29, v13
	s_delay_alu instid0(VALU_DEP_2) | instskip(NEXT) | instid1(VALU_DEP_2)
	v_div_scale_f32 v33, null, v17, v17, v21
	v_dual_mul_f32 v20, v20, v29 :: v_dual_mul_f32 v29, v35, v27
	v_fma_f32 v31, -v1, v13, v24
	v_mul_f32_e32 v14, v24, v14
	s_delay_alu instid0(VALU_DEP_4) | instskip(NEXT) | instid1(VALU_DEP_3)
	v_rcp_f32_e32 v39, v33
	v_div_scale_f32 v28, null, v25, v25, v20
	v_fma_f32 v38, -v22, v29, v35
	v_mul_f32_e32 v32, v17, v25
	v_fmac_f32_e32 v31, v13, v13
	s_delay_alu instid0(VALU_DEP_4) | instskip(NEXT) | instid1(VALU_DEP_3)
	v_rcp_f32_e32 v37, v28
	v_dual_fmac_f32 v29, v38, v27 :: v_dual_mul_f32 v38, v36, v34
	s_delay_alu instid0(VALU_DEP_2) | instskip(SKIP_1) | instid1(VALU_DEP_3)
	v_mul_f32_e32 v26, v31, v26
	v_div_scale_f32 v31, s4, v21, v17, v21
	v_fma_f32 v22, -v22, v29, v35
	s_delay_alu instid0(VALU_DEP_4)
	v_fma_f32 v35, -v30, v38, v36
	s_waitcnt_depctr 0xfff
	v_fma_f32 v40, -v28, v37, 1.0
	v_fmac_f32_e32 v38, v35, v34
	v_div_fmas_f32 v22, v22, v27, v29
	v_mul_f32_e32 v27, v13, v13
	v_div_scale_f32 v24, null, v32, v32, v26
	v_fmac_f32_e32 v37, v40, v37
	s_delay_alu instid0(VALU_DEP_3) | instskip(NEXT) | instid1(VALU_DEP_3)
	v_dual_mul_f32 v13, v10, v13 :: v_dual_fmac_f32 v14, v9, v27
	v_rcp_f32_e32 v29, v24
	v_div_scale_f32 v9, s3, v20, v25, v20
	v_fma_f32 v27, -v33, v39, 1.0
	s_delay_alu instid0(VALU_DEP_3) | instskip(SKIP_1) | instid1(VALU_DEP_2)
	v_fma_f32 v1, v1, v12, -v13
	s_mov_b32 vcc_lo, s2
	v_fmac_f32_e32 v39, v27, v39
	s_waitcnt_depctr 0xfff
	v_fma_f32 v35, -v24, v29, 1.0
	s_delay_alu instid0(VALU_DEP_1) | instskip(NEXT) | instid1(VALU_DEP_1)
	v_dual_mul_f32 v16, 4.0, v16 :: v_dual_fmac_f32 v29, v35, v29
	v_dual_mul_f32 v14, v19, v14 :: v_dual_mul_f32 v1, v16, v1
	v_fma_f32 v19, -v30, v38, v36
	v_mul_f32_e32 v30, v9, v37
	v_div_scale_f32 v36, s2, v26, v32, v26
	s_delay_alu instid0(VALU_DEP_4) | instskip(NEXT) | instid1(VALU_DEP_3)
	v_div_scale_f32 v27, null, v25, v25, v14
	v_fma_f32 v16, -v28, v30, v9
	v_div_scale_f32 v35, null, v17, v17, v1
	s_delay_alu instid0(VALU_DEP_3) | instskip(SKIP_1) | instid1(VALU_DEP_3)
	v_rcp_f32_e32 v13, v27
	v_div_fmas_f32 v19, v19, v34, v38
	v_fmac_f32_e32 v30, v16, v37
	s_delay_alu instid0(VALU_DEP_3) | instskip(SKIP_2) | instid1(VALU_DEP_2)
	v_rcp_f32_e32 v40, v35
	v_dual_mul_f32 v34, v31, v39 :: v_dual_mul_f32 v41, v36, v29
	s_mov_b32 vcc_lo, s3
	v_fma_f32 v9, -v28, v30, v9
	v_add_f32_e32 v10, v10, v12
	s_delay_alu instid0(VALU_DEP_3) | instskip(NEXT) | instid1(TRANS32_DEP_2)
	v_fma_f32 v16, -v33, v34, v31
	v_fma_f32 v38, -v27, v13, 1.0
	v_fma_f32 v12, -v24, v41, v36
	v_div_fmas_f32 v9, v9, v37, v30
	s_delay_alu instid0(TRANS32_DEP_1) | instskip(NEXT) | instid1(VALU_DEP_4)
	v_fma_f32 v28, -v35, v40, 1.0
	v_dual_fmac_f32 v34, v16, v39 :: v_dual_fmac_f32 v13, v38, v13
	v_div_scale_f32 v38, s5, v14, v25, v14
	s_delay_alu instid0(VALU_DEP_4) | instskip(SKIP_3) | instid1(VALU_DEP_4)
	v_div_fixup_f32 v9, v9, v25, v20
	v_fmac_f32_e32 v41, v12, v29
	v_fmac_f32_e32 v40, v28, v40
	v_div_scale_f32 v28, s3, v1, v17, v1
	v_add_f32_e32 v9, v10, v9
	v_mul_f32_e32 v16, v38, v13
	v_fma_f32 v30, -v33, v34, v31
	s_delay_alu instid0(VALU_DEP_4)
	v_mul_f32_e32 v31, v28, v40
	v_fma_f32 v24, -v24, v41, v36
	s_mov_b32 vcc_lo, s4
	v_fma_f32 v12, -v27, v16, v38
	v_div_fmas_f32 v30, v30, v39, v34
	s_mov_b32 vcc_lo, s2
	s_delay_alu instid0(VALU_DEP_2) | instskip(SKIP_3) | instid1(VALU_DEP_3)
	v_fmac_f32_e32 v16, v12, v13
	v_div_fmas_f32 v12, v24, v29, v41
	v_fma_f32 v24, -v35, v31, v28
	s_mov_b32 vcc_lo, s5
	v_fma_f32 v11, -v27, v16, v38
	s_delay_alu instid0(VALU_DEP_3) | instskip(NEXT) | instid1(VALU_DEP_3)
	v_div_fixup_f32 v12, v12, v32, v26
	v_fmac_f32_e32 v31, v24, v40
	s_delay_alu instid0(VALU_DEP_3) | instskip(SKIP_1) | instid1(VALU_DEP_2)
	v_div_fmas_f32 v11, v11, v13, v16
	s_mov_b32 vcc_lo, s3
	v_fma_f32 v10, -v35, v31, v28
	v_div_fixup_f32 v13, v19, v17, v23
	v_add_f32_e32 v8, v8, v12
	v_div_fixup_f32 v11, v11, v25, v14
	v_div_fixup_f32 v12, v30, v17, v21
	v_div_fmas_f32 v10, v10, v40, v31
	v_add_f32_e32 v13, v15, v13
	v_div_fixup_f32 v14, v22, v17, v18
	v_add_f32_e32 v8, v11, v8
	v_cmp_lt_f32_e32 vcc_lo, v3, v7
	v_div_fixup_f32 v1, v10, v17, v1
	v_add_f32_e32 v10, v12, v9
	v_dual_add_f32 v4, v4, v14 :: v_dual_mov_b32 v9, v13
	v_cndmask_b32_e32 v3, v3, v7, vcc_lo
	s_delay_alu instid0(VALU_DEP_4)
	v_add_f32_e32 v11, v1, v8
	v_mov_b32_e32 v1, v17
.LBB16_109:
	s_or_b32 exec_lo, exec_lo, s7
	v_cmp_gt_u32_e32 vcc_lo, 28, v5
	v_add_nc_u32_e32 v17, 4, v5
	s_mov_b32 s7, exec_lo
	s_waitcnt lgkmcnt(4)
	v_cndmask_b32_e64 v7, 0, 1, vcc_lo
	s_delay_alu instid0(VALU_DEP_1) | instskip(SKIP_1) | instid1(VALU_DEP_1)
	v_lshlrev_b32_e32 v7, 2, v7
	s_waitcnt lgkmcnt(0)
	v_add_lshl_u32 v8, v7, v5, 2
	ds_bpermute_b32 v13, v8, v1
	ds_bpermute_b32 v15, v8, v2
	ds_bpermute_b32 v7, v8, v3
	ds_bpermute_b32 v16, v8, v4
	ds_bpermute_b32 v14, v8, v9
	ds_bpermute_b32 v12, v8, v10
	ds_bpermute_b32 v8, v8, v11
	v_cmpx_lt_u32_e64 v17, v6
	s_cbranch_execz .LBB16_111
; %bb.110:
	s_waitcnt lgkmcnt(3)
	v_dual_sub_f32 v16, v16, v4 :: v_dual_add_f32 v17, v1, v13
	v_cmp_gt_f32_e32 vcc_lo, v2, v15
	s_waitcnt lgkmcnt(0)
	v_add_f32_e32 v8, v11, v8
	s_delay_alu instid0(VALU_DEP_3) | instskip(SKIP_3) | instid1(VALU_DEP_4)
	v_dual_sub_f32 v20, v1, v13 :: v_dual_mul_f32 v19, v16, v16
	v_mul_f32_e32 v18, v16, v13
	v_mul_f32_e32 v21, v9, v13
	v_dual_mul_f32 v25, v17, v17 :: v_dual_mul_f32 v28, 0x40400000, v16
	v_mul_f32_e32 v23, v1, v19
	s_delay_alu instid0(VALU_DEP_4) | instskip(SKIP_2) | instid1(VALU_DEP_4)
	v_div_scale_f32 v22, null, v17, v17, v18
	v_mul_f32_e32 v26, v16, v19
	v_fma_f32 v21, v1, v14, -v21
	v_mul_f32_e32 v23, v23, v13
	s_delay_alu instid0(VALU_DEP_4)
	v_rcp_f32_e32 v27, v22
	v_dual_cndmask_b32 v2, v2, v15 :: v_dual_add_f32 v15, v9, v14
	v_mul_f32_e32 v29, v1, v26
	v_mul_f32_e32 v26, v16, v26
	v_div_scale_f32 v30, null, v17, v17, v23
	v_div_scale_f32 v35, vcc_lo, v18, v17, v18
	s_delay_alu instid0(VALU_DEP_3) | instskip(NEXT) | instid1(VALU_DEP_3)
	v_mul_f32_e32 v26, v1, v26
	v_rcp_f32_e32 v34, v30
	s_delay_alu instid0(TRANS32_DEP_2) | instskip(SKIP_1) | instid1(VALU_DEP_3)
	v_fma_f32 v33, -v22, v27, 1.0
	v_div_scale_f32 v36, s2, v23, v17, v23
	v_dual_mul_f32 v26, v26, v13 :: v_dual_mul_f32 v19, 0x40c00000, v19
	s_delay_alu instid0(VALU_DEP_3) | instskip(SKIP_3) | instid1(VALU_DEP_1)
	v_fmac_f32_e32 v27, v33, v27
	v_mul_f32_e32 v24, v1, v1
	s_waitcnt_depctr 0xfff
	v_fma_f32 v33, -v30, v34, 1.0
	v_dual_mul_f32 v21, v28, v21 :: v_dual_fmac_f32 v34, v33, v34
	v_mul_f32_e32 v29, v29, v13
	s_delay_alu instid0(VALU_DEP_2) | instskip(NEXT) | instid1(VALU_DEP_2)
	v_div_scale_f32 v33, null, v17, v17, v21
	v_dual_mul_f32 v20, v20, v29 :: v_dual_mul_f32 v29, v35, v27
	v_fma_f32 v31, -v1, v13, v24
	v_mul_f32_e32 v14, v24, v14
	s_delay_alu instid0(VALU_DEP_4) | instskip(NEXT) | instid1(VALU_DEP_3)
	v_rcp_f32_e32 v39, v33
	v_div_scale_f32 v28, null, v25, v25, v20
	v_fma_f32 v38, -v22, v29, v35
	v_mul_f32_e32 v32, v17, v25
	v_fmac_f32_e32 v31, v13, v13
	s_delay_alu instid0(VALU_DEP_4) | instskip(NEXT) | instid1(VALU_DEP_3)
	v_rcp_f32_e32 v37, v28
	v_dual_fmac_f32 v29, v38, v27 :: v_dual_mul_f32 v38, v36, v34
	s_delay_alu instid0(VALU_DEP_2) | instskip(SKIP_1) | instid1(VALU_DEP_3)
	v_mul_f32_e32 v26, v31, v26
	v_div_scale_f32 v31, s4, v21, v17, v21
	v_fma_f32 v22, -v22, v29, v35
	s_delay_alu instid0(VALU_DEP_4)
	v_fma_f32 v35, -v30, v38, v36
	s_waitcnt_depctr 0xfff
	v_fma_f32 v40, -v28, v37, 1.0
	v_fmac_f32_e32 v38, v35, v34
	v_div_fmas_f32 v22, v22, v27, v29
	v_mul_f32_e32 v27, v13, v13
	v_div_scale_f32 v24, null, v32, v32, v26
	v_fmac_f32_e32 v37, v40, v37
	s_delay_alu instid0(VALU_DEP_3) | instskip(NEXT) | instid1(VALU_DEP_3)
	v_dual_mul_f32 v13, v10, v13 :: v_dual_fmac_f32 v14, v9, v27
	v_rcp_f32_e32 v29, v24
	v_div_scale_f32 v9, s3, v20, v25, v20
	v_fma_f32 v27, -v33, v39, 1.0
	s_delay_alu instid0(VALU_DEP_3) | instskip(SKIP_1) | instid1(VALU_DEP_2)
	v_fma_f32 v1, v1, v12, -v13
	s_mov_b32 vcc_lo, s2
	v_fmac_f32_e32 v39, v27, v39
	s_waitcnt_depctr 0xfff
	v_fma_f32 v35, -v24, v29, 1.0
	s_delay_alu instid0(VALU_DEP_1) | instskip(NEXT) | instid1(VALU_DEP_1)
	v_dual_mul_f32 v16, 4.0, v16 :: v_dual_fmac_f32 v29, v35, v29
	v_dual_mul_f32 v14, v19, v14 :: v_dual_mul_f32 v1, v16, v1
	v_fma_f32 v19, -v30, v38, v36
	v_mul_f32_e32 v30, v9, v37
	v_div_scale_f32 v36, s2, v26, v32, v26
	s_delay_alu instid0(VALU_DEP_4) | instskip(NEXT) | instid1(VALU_DEP_3)
	v_div_scale_f32 v27, null, v25, v25, v14
	v_fma_f32 v16, -v28, v30, v9
	v_div_scale_f32 v35, null, v17, v17, v1
	s_delay_alu instid0(VALU_DEP_3) | instskip(SKIP_1) | instid1(VALU_DEP_3)
	v_rcp_f32_e32 v13, v27
	v_div_fmas_f32 v19, v19, v34, v38
	v_fmac_f32_e32 v30, v16, v37
	s_delay_alu instid0(VALU_DEP_3) | instskip(SKIP_2) | instid1(VALU_DEP_2)
	v_rcp_f32_e32 v40, v35
	v_dual_mul_f32 v34, v31, v39 :: v_dual_mul_f32 v41, v36, v29
	s_mov_b32 vcc_lo, s3
	v_fma_f32 v9, -v28, v30, v9
	v_add_f32_e32 v10, v10, v12
	s_delay_alu instid0(VALU_DEP_3) | instskip(NEXT) | instid1(TRANS32_DEP_2)
	v_fma_f32 v16, -v33, v34, v31
	v_fma_f32 v38, -v27, v13, 1.0
	v_fma_f32 v12, -v24, v41, v36
	v_div_fmas_f32 v9, v9, v37, v30
	s_delay_alu instid0(TRANS32_DEP_1) | instskip(NEXT) | instid1(VALU_DEP_4)
	v_fma_f32 v28, -v35, v40, 1.0
	v_dual_fmac_f32 v34, v16, v39 :: v_dual_fmac_f32 v13, v38, v13
	v_div_scale_f32 v38, s5, v14, v25, v14
	s_delay_alu instid0(VALU_DEP_4) | instskip(SKIP_3) | instid1(VALU_DEP_4)
	v_div_fixup_f32 v9, v9, v25, v20
	v_fmac_f32_e32 v41, v12, v29
	v_fmac_f32_e32 v40, v28, v40
	v_div_scale_f32 v28, s3, v1, v17, v1
	v_add_f32_e32 v9, v10, v9
	v_mul_f32_e32 v16, v38, v13
	v_fma_f32 v30, -v33, v34, v31
	s_delay_alu instid0(VALU_DEP_4)
	v_mul_f32_e32 v31, v28, v40
	v_fma_f32 v24, -v24, v41, v36
	s_mov_b32 vcc_lo, s4
	v_fma_f32 v12, -v27, v16, v38
	v_div_fmas_f32 v30, v30, v39, v34
	s_mov_b32 vcc_lo, s2
	s_delay_alu instid0(VALU_DEP_2) | instskip(SKIP_3) | instid1(VALU_DEP_3)
	v_fmac_f32_e32 v16, v12, v13
	v_div_fmas_f32 v12, v24, v29, v41
	v_fma_f32 v24, -v35, v31, v28
	s_mov_b32 vcc_lo, s5
	v_fma_f32 v11, -v27, v16, v38
	s_delay_alu instid0(VALU_DEP_3) | instskip(NEXT) | instid1(VALU_DEP_3)
	v_div_fixup_f32 v12, v12, v32, v26
	v_fmac_f32_e32 v31, v24, v40
	s_delay_alu instid0(VALU_DEP_3) | instskip(SKIP_1) | instid1(VALU_DEP_2)
	v_div_fmas_f32 v11, v11, v13, v16
	s_mov_b32 vcc_lo, s3
	v_fma_f32 v10, -v35, v31, v28
	v_div_fixup_f32 v13, v19, v17, v23
	v_add_f32_e32 v8, v8, v12
	v_div_fixup_f32 v11, v11, v25, v14
	v_div_fixup_f32 v12, v30, v17, v21
	v_div_fmas_f32 v10, v10, v40, v31
	v_add_f32_e32 v13, v15, v13
	v_div_fixup_f32 v14, v22, v17, v18
	v_add_f32_e32 v8, v11, v8
	v_cmp_lt_f32_e32 vcc_lo, v3, v7
	v_div_fixup_f32 v1, v10, v17, v1
	v_add_f32_e32 v10, v12, v9
	v_dual_add_f32 v4, v4, v14 :: v_dual_mov_b32 v9, v13
	v_cndmask_b32_e32 v3, v3, v7, vcc_lo
	s_delay_alu instid0(VALU_DEP_4)
	v_add_f32_e32 v11, v1, v8
	v_mov_b32_e32 v1, v17
.LBB16_111:
	s_or_b32 exec_lo, exec_lo, s7
	v_cmp_gt_u32_e32 vcc_lo, 24, v5
	v_add_nc_u32_e32 v17, 8, v5
	s_mov_b32 s7, exec_lo
	s_waitcnt lgkmcnt(4)
	v_cndmask_b32_e64 v7, 0, 1, vcc_lo
	s_delay_alu instid0(VALU_DEP_1) | instskip(SKIP_1) | instid1(VALU_DEP_1)
	v_lshlrev_b32_e32 v7, 3, v7
	s_waitcnt lgkmcnt(0)
	v_add_lshl_u32 v8, v7, v5, 2
	ds_bpermute_b32 v13, v8, v1
	ds_bpermute_b32 v15, v8, v2
	;; [unrolled: 1-line block ×7, first 2 shown]
	v_cmpx_lt_u32_e64 v17, v6
	s_cbranch_execz .LBB16_113
; %bb.112:
	s_waitcnt lgkmcnt(3)
	v_dual_sub_f32 v16, v16, v4 :: v_dual_add_f32 v17, v1, v13
	v_cmp_gt_f32_e32 vcc_lo, v2, v15
	s_waitcnt lgkmcnt(0)
	v_add_f32_e32 v8, v11, v8
	s_delay_alu instid0(VALU_DEP_3) | instskip(SKIP_3) | instid1(VALU_DEP_4)
	v_dual_sub_f32 v20, v1, v13 :: v_dual_mul_f32 v19, v16, v16
	v_mul_f32_e32 v18, v16, v13
	v_mul_f32_e32 v21, v9, v13
	v_dual_mul_f32 v25, v17, v17 :: v_dual_mul_f32 v28, 0x40400000, v16
	v_mul_f32_e32 v23, v1, v19
	s_delay_alu instid0(VALU_DEP_4) | instskip(SKIP_2) | instid1(VALU_DEP_4)
	v_div_scale_f32 v22, null, v17, v17, v18
	v_mul_f32_e32 v26, v16, v19
	v_fma_f32 v21, v1, v14, -v21
	v_mul_f32_e32 v23, v23, v13
	s_delay_alu instid0(VALU_DEP_4)
	v_rcp_f32_e32 v27, v22
	v_dual_cndmask_b32 v2, v2, v15 :: v_dual_add_f32 v15, v9, v14
	v_mul_f32_e32 v29, v1, v26
	v_mul_f32_e32 v26, v16, v26
	v_div_scale_f32 v30, null, v17, v17, v23
	v_div_scale_f32 v35, vcc_lo, v18, v17, v18
	s_delay_alu instid0(VALU_DEP_3) | instskip(NEXT) | instid1(VALU_DEP_3)
	v_mul_f32_e32 v26, v1, v26
	v_rcp_f32_e32 v34, v30
	s_delay_alu instid0(TRANS32_DEP_2) | instskip(SKIP_1) | instid1(VALU_DEP_3)
	v_fma_f32 v33, -v22, v27, 1.0
	v_div_scale_f32 v36, s2, v23, v17, v23
	v_dual_mul_f32 v26, v26, v13 :: v_dual_mul_f32 v19, 0x40c00000, v19
	s_delay_alu instid0(VALU_DEP_3) | instskip(SKIP_3) | instid1(VALU_DEP_1)
	v_fmac_f32_e32 v27, v33, v27
	v_mul_f32_e32 v24, v1, v1
	s_waitcnt_depctr 0xfff
	v_fma_f32 v33, -v30, v34, 1.0
	v_dual_mul_f32 v21, v28, v21 :: v_dual_fmac_f32 v34, v33, v34
	v_mul_f32_e32 v29, v29, v13
	s_delay_alu instid0(VALU_DEP_2) | instskip(NEXT) | instid1(VALU_DEP_2)
	v_div_scale_f32 v33, null, v17, v17, v21
	v_dual_mul_f32 v20, v20, v29 :: v_dual_mul_f32 v29, v35, v27
	v_fma_f32 v31, -v1, v13, v24
	v_mul_f32_e32 v14, v24, v14
	s_delay_alu instid0(VALU_DEP_4) | instskip(NEXT) | instid1(VALU_DEP_3)
	v_rcp_f32_e32 v39, v33
	v_div_scale_f32 v28, null, v25, v25, v20
	v_fma_f32 v38, -v22, v29, v35
	v_mul_f32_e32 v32, v17, v25
	v_fmac_f32_e32 v31, v13, v13
	s_delay_alu instid0(VALU_DEP_4) | instskip(NEXT) | instid1(VALU_DEP_3)
	v_rcp_f32_e32 v37, v28
	v_dual_fmac_f32 v29, v38, v27 :: v_dual_mul_f32 v38, v36, v34
	s_delay_alu instid0(VALU_DEP_2) | instskip(SKIP_1) | instid1(VALU_DEP_3)
	v_mul_f32_e32 v26, v31, v26
	v_div_scale_f32 v31, s4, v21, v17, v21
	v_fma_f32 v22, -v22, v29, v35
	s_delay_alu instid0(VALU_DEP_4)
	v_fma_f32 v35, -v30, v38, v36
	s_waitcnt_depctr 0xfff
	v_fma_f32 v40, -v28, v37, 1.0
	v_fmac_f32_e32 v38, v35, v34
	v_div_fmas_f32 v22, v22, v27, v29
	v_mul_f32_e32 v27, v13, v13
	v_div_scale_f32 v24, null, v32, v32, v26
	v_fmac_f32_e32 v37, v40, v37
	s_delay_alu instid0(VALU_DEP_3) | instskip(NEXT) | instid1(VALU_DEP_3)
	v_dual_mul_f32 v13, v10, v13 :: v_dual_fmac_f32 v14, v9, v27
	v_rcp_f32_e32 v29, v24
	v_div_scale_f32 v9, s3, v20, v25, v20
	v_fma_f32 v27, -v33, v39, 1.0
	s_delay_alu instid0(VALU_DEP_3) | instskip(SKIP_1) | instid1(VALU_DEP_2)
	v_fma_f32 v1, v1, v12, -v13
	s_mov_b32 vcc_lo, s2
	v_fmac_f32_e32 v39, v27, v39
	s_waitcnt_depctr 0xfff
	v_fma_f32 v35, -v24, v29, 1.0
	s_delay_alu instid0(VALU_DEP_1) | instskip(NEXT) | instid1(VALU_DEP_1)
	v_dual_mul_f32 v16, 4.0, v16 :: v_dual_fmac_f32 v29, v35, v29
	v_dual_mul_f32 v14, v19, v14 :: v_dual_mul_f32 v1, v16, v1
	v_fma_f32 v19, -v30, v38, v36
	v_mul_f32_e32 v30, v9, v37
	v_div_scale_f32 v36, s2, v26, v32, v26
	s_delay_alu instid0(VALU_DEP_4) | instskip(NEXT) | instid1(VALU_DEP_3)
	v_div_scale_f32 v27, null, v25, v25, v14
	v_fma_f32 v16, -v28, v30, v9
	v_div_scale_f32 v35, null, v17, v17, v1
	s_delay_alu instid0(VALU_DEP_3) | instskip(SKIP_1) | instid1(VALU_DEP_3)
	v_rcp_f32_e32 v13, v27
	v_div_fmas_f32 v19, v19, v34, v38
	v_fmac_f32_e32 v30, v16, v37
	s_delay_alu instid0(VALU_DEP_3) | instskip(SKIP_2) | instid1(VALU_DEP_2)
	v_rcp_f32_e32 v40, v35
	v_dual_mul_f32 v34, v31, v39 :: v_dual_mul_f32 v41, v36, v29
	s_mov_b32 vcc_lo, s3
	v_fma_f32 v9, -v28, v30, v9
	v_add_f32_e32 v10, v10, v12
	s_delay_alu instid0(VALU_DEP_3) | instskip(NEXT) | instid1(TRANS32_DEP_2)
	v_fma_f32 v16, -v33, v34, v31
	v_fma_f32 v38, -v27, v13, 1.0
	v_fma_f32 v12, -v24, v41, v36
	v_div_fmas_f32 v9, v9, v37, v30
	s_delay_alu instid0(TRANS32_DEP_1) | instskip(NEXT) | instid1(VALU_DEP_4)
	v_fma_f32 v28, -v35, v40, 1.0
	v_dual_fmac_f32 v34, v16, v39 :: v_dual_fmac_f32 v13, v38, v13
	v_div_scale_f32 v38, s5, v14, v25, v14
	s_delay_alu instid0(VALU_DEP_4) | instskip(SKIP_3) | instid1(VALU_DEP_4)
	v_div_fixup_f32 v9, v9, v25, v20
	v_fmac_f32_e32 v41, v12, v29
	v_fmac_f32_e32 v40, v28, v40
	v_div_scale_f32 v28, s3, v1, v17, v1
	v_add_f32_e32 v9, v10, v9
	v_mul_f32_e32 v16, v38, v13
	v_fma_f32 v30, -v33, v34, v31
	s_delay_alu instid0(VALU_DEP_4)
	v_mul_f32_e32 v31, v28, v40
	v_fma_f32 v24, -v24, v41, v36
	s_mov_b32 vcc_lo, s4
	v_fma_f32 v12, -v27, v16, v38
	v_div_fmas_f32 v30, v30, v39, v34
	s_mov_b32 vcc_lo, s2
	s_delay_alu instid0(VALU_DEP_2) | instskip(SKIP_3) | instid1(VALU_DEP_3)
	v_fmac_f32_e32 v16, v12, v13
	v_div_fmas_f32 v12, v24, v29, v41
	v_fma_f32 v24, -v35, v31, v28
	s_mov_b32 vcc_lo, s5
	v_fma_f32 v11, -v27, v16, v38
	s_delay_alu instid0(VALU_DEP_3) | instskip(NEXT) | instid1(VALU_DEP_3)
	v_div_fixup_f32 v12, v12, v32, v26
	v_fmac_f32_e32 v31, v24, v40
	s_delay_alu instid0(VALU_DEP_3) | instskip(SKIP_1) | instid1(VALU_DEP_2)
	v_div_fmas_f32 v11, v11, v13, v16
	s_mov_b32 vcc_lo, s3
	v_fma_f32 v10, -v35, v31, v28
	v_div_fixup_f32 v13, v19, v17, v23
	v_add_f32_e32 v8, v8, v12
	v_div_fixup_f32 v11, v11, v25, v14
	v_div_fixup_f32 v12, v30, v17, v21
	v_div_fmas_f32 v10, v10, v40, v31
	v_add_f32_e32 v13, v15, v13
	v_div_fixup_f32 v14, v22, v17, v18
	v_add_f32_e32 v8, v11, v8
	v_cmp_lt_f32_e32 vcc_lo, v3, v7
	v_div_fixup_f32 v1, v10, v17, v1
	v_add_f32_e32 v10, v12, v9
	v_dual_add_f32 v4, v4, v14 :: v_dual_mov_b32 v9, v13
	v_cndmask_b32_e32 v3, v3, v7, vcc_lo
	s_delay_alu instid0(VALU_DEP_4)
	v_add_f32_e32 v11, v1, v8
	v_mov_b32_e32 v1, v17
.LBB16_113:
	s_or_b32 exec_lo, exec_lo, s7
	v_cmp_gt_u32_e32 vcc_lo, 16, v5
	v_add_nc_u32_e32 v17, 16, v5
	s_mov_b32 s7, exec_lo
	s_waitcnt lgkmcnt(4)
	v_cndmask_b32_e64 v7, 0, 1, vcc_lo
	s_delay_alu instid0(VALU_DEP_1) | instskip(SKIP_1) | instid1(VALU_DEP_1)
	v_lshlrev_b32_e32 v7, 4, v7
	s_waitcnt lgkmcnt(0)
	v_add_lshl_u32 v8, v7, v5, 2
	ds_bpermute_b32 v13, v8, v1
	ds_bpermute_b32 v15, v8, v2
	;; [unrolled: 1-line block ×7, first 2 shown]
	v_cmpx_lt_u32_e64 v17, v6
	s_cbranch_execz .LBB16_115
; %bb.114:
	s_waitcnt lgkmcnt(3)
	v_sub_f32_e32 v6, v16, v4
	v_cmp_gt_f32_e32 vcc_lo, v2, v15
	s_waitcnt lgkmcnt(0)
	v_dual_add_f32 v8, v11, v8 :: v_dual_mul_f32 v23, v1, v1
	v_dual_sub_f32 v19, v1, v13 :: v_dual_cndmask_b32 v2, v2, v15
	v_add_f32_e32 v15, v9, v14
	v_mul_f32_e32 v18, v6, v6
	v_add_f32_e32 v16, v1, v13
	v_mul_f32_e32 v17, v6, v13
	v_dual_mul_f32 v20, v9, v13 :: v_dual_mul_f32 v27, 0x40400000, v6
	s_delay_alu instid0(VALU_DEP_4) | instskip(SKIP_1) | instid1(VALU_DEP_4)
	v_mul_f32_e32 v22, v1, v18
	v_mul_f32_e32 v25, v6, v18
	v_div_scale_f32 v21, null, v16, v16, v17
	v_mul_f32_e32 v24, v16, v16
	v_div_scale_f32 v34, vcc_lo, v17, v16, v17
	s_delay_alu instid0(VALU_DEP_3) | instskip(SKIP_4) | instid1(VALU_DEP_4)
	v_rcp_f32_e32 v26, v21
	v_mul_f32_e32 v28, v1, v25
	v_mul_f32_e32 v25, v6, v25
	v_dual_mul_f32 v22, v22, v13 :: v_dual_mul_f32 v31, v16, v24
	v_fma_f32 v20, v1, v14, -v20
	v_mul_f32_e32 v28, v28, v13
	v_fma_f32 v30, -v1, v13, v23
	s_delay_alu instid0(VALU_DEP_4) | instskip(NEXT) | instid1(TRANS32_DEP_1)
	v_div_scale_f32 v29, null, v16, v16, v22
	v_fma_f32 v32, -v21, v26, 1.0
	s_delay_alu instid0(VALU_DEP_4) | instskip(SKIP_1) | instid1(VALU_DEP_4)
	v_mul_f32_e32 v19, v19, v28
	v_div_scale_f32 v35, s2, v22, v16, v22
	v_rcp_f32_e32 v33, v29
	s_delay_alu instid0(VALU_DEP_3) | instskip(SKIP_3) | instid1(VALU_DEP_4)
	v_dual_fmac_f32 v26, v32, v26 :: v_dual_mul_f32 v25, v1, v25
	v_mul_f32_e32 v18, 0x40c00000, v18
	v_mul_f32_e32 v6, 4.0, v6
	v_mul_f32_e32 v14, v23, v14
	v_dual_mul_f32 v28, v34, v26 :: v_dual_mul_f32 v25, v25, v13
	s_waitcnt_depctr 0xfff
	v_fma_f32 v32, -v29, v33, 1.0
	v_mul_f32_e32 v20, v27, v20
	v_div_scale_f32 v27, null, v24, v24, v19
	v_fma_f32 v37, -v21, v28, v34
	s_delay_alu instid0(VALU_DEP_4) | instskip(NEXT) | instid1(VALU_DEP_4)
	v_fmac_f32_e32 v33, v32, v33
	v_div_scale_f32 v32, null, v16, v16, v20
	s_delay_alu instid0(VALU_DEP_4) | instskip(NEXT) | instid1(VALU_DEP_2)
	v_rcp_f32_e32 v36, v27
	v_dual_fmac_f32 v28, v37, v26 :: v_dual_mul_f32 v37, v35, v33
	s_delay_alu instid0(VALU_DEP_2) | instskip(NEXT) | instid1(VALU_DEP_1)
	v_rcp_f32_e32 v38, v32
	v_fma_f32 v21, -v21, v28, v34
	s_delay_alu instid0(VALU_DEP_2)
	v_fma_f32 v34, -v29, v37, v35
	s_waitcnt_depctr 0xfff
	v_fma_f32 v39, -v27, v36, 1.0
	v_div_fmas_f32 v21, v21, v26, v28
	v_mul_f32_e32 v26, v13, v13
	v_fmac_f32_e32 v37, v34, v33
	s_mov_b32 vcc_lo, s2
	v_fmac_f32_e32 v36, v39, v36
	s_delay_alu instid0(VALU_DEP_3) | instskip(SKIP_2) | instid1(VALU_DEP_3)
	v_fmac_f32_e32 v14, v9, v26
	v_div_scale_f32 v9, s3, v19, v24, v19
	v_fma_f32 v26, -v32, v38, 1.0
	v_mul_f32_e32 v14, v18, v14
	v_fma_f32 v18, -v29, v37, v35
	s_delay_alu instid0(VALU_DEP_4)
	v_mul_f32_e32 v29, v9, v36
	v_fmac_f32_e32 v30, v13, v13
	v_mul_f32_e32 v13, v10, v13
	v_add_f32_e32 v10, v10, v12
	v_div_fmas_f32 v18, v18, v33, v37
	s_mov_b32 vcc_lo, s3
	s_delay_alu instid0(VALU_DEP_3) | instskip(NEXT) | instid1(VALU_DEP_1)
	v_fma_f32 v1, v1, v12, -v13
	v_mul_f32_e32 v1, v6, v1
	v_fma_f32 v6, -v27, v29, v9
	s_delay_alu instid0(VALU_DEP_1) | instskip(SKIP_2) | instid1(VALU_DEP_3)
	v_fmac_f32_e32 v29, v6, v36
	v_mul_f32_e32 v25, v30, v25
	v_div_scale_f32 v30, s4, v20, v16, v20
	v_fma_f32 v9, -v27, v29, v9
	s_delay_alu instid0(VALU_DEP_3) | instskip(SKIP_1) | instid1(VALU_DEP_3)
	v_div_scale_f32 v23, null, v31, v31, v25
	v_div_scale_f32 v35, s2, v25, v31, v25
	v_div_fmas_f32 v9, v9, v36, v29
	s_delay_alu instid0(VALU_DEP_3) | instskip(SKIP_1) | instid1(VALU_DEP_1)
	v_rcp_f32_e32 v28, v23
	s_mov_b32 vcc_lo, s4
	v_div_fixup_f32 v9, v9, v24, v19
	s_delay_alu instid0(VALU_DEP_1) | instskip(SKIP_2) | instid1(VALU_DEP_1)
	v_add_f32_e32 v9, v10, v9
	s_waitcnt_depctr 0xfff
	v_fma_f32 v34, -v23, v28, 1.0
	v_fmac_f32_e32 v28, v34, v28
	v_div_scale_f32 v34, null, v16, v16, v1
	s_delay_alu instid0(VALU_DEP_2) | instskip(NEXT) | instid1(VALU_DEP_2)
	v_mul_f32_e32 v40, v35, v28
	v_rcp_f32_e32 v39, v34
	s_waitcnt_depctr 0xfff
	v_fma_f32 v27, -v34, v39, 1.0
	v_fmac_f32_e32 v38, v26, v38
	v_div_scale_f32 v26, null, v24, v24, v14
	s_delay_alu instid0(VALU_DEP_3) | instskip(NEXT) | instid1(VALU_DEP_3)
	v_fmac_f32_e32 v39, v27, v39
	v_mul_f32_e32 v33, v30, v38
	s_delay_alu instid0(VALU_DEP_3) | instskip(SKIP_1) | instid1(VALU_DEP_2)
	v_rcp_f32_e32 v13, v26
	v_div_scale_f32 v27, s3, v1, v16, v1
	v_fma_f32 v6, -v32, v33, v30
	s_delay_alu instid0(VALU_DEP_1) | instskip(SKIP_4) | instid1(VALU_DEP_3)
	v_fmac_f32_e32 v33, v6, v38
	s_waitcnt_depctr 0xfff
	v_fma_f32 v37, -v26, v13, 1.0
	v_fma_f32 v6, -v23, v40, v35
	v_fma_f32 v29, -v32, v33, v30
	v_fmac_f32_e32 v13, v37, v13
	v_div_scale_f32 v37, s5, v14, v24, v14
	s_delay_alu instid0(VALU_DEP_4) | instskip(SKIP_2) | instid1(VALU_DEP_4)
	v_fmac_f32_e32 v40, v6, v28
	v_mul_f32_e32 v30, v27, v39
	v_div_fmas_f32 v29, v29, v38, v33
	v_mul_f32_e32 v12, v37, v13
	s_mov_b32 vcc_lo, s2
	v_fma_f32 v23, -v23, v40, v35
	s_delay_alu instid0(VALU_DEP_2) | instskip(NEXT) | instid1(VALU_DEP_1)
	v_fma_f32 v6, -v26, v12, v37
	v_fmac_f32_e32 v12, v6, v13
	s_delay_alu instid0(VALU_DEP_3) | instskip(SKIP_2) | instid1(VALU_DEP_3)
	v_div_fmas_f32 v6, v23, v28, v40
	v_fma_f32 v23, -v34, v30, v27
	s_mov_b32 vcc_lo, s5
	v_fma_f32 v11, -v26, v12, v37
	s_delay_alu instid0(VALU_DEP_3) | instskip(NEXT) | instid1(VALU_DEP_3)
	v_div_fixup_f32 v6, v6, v31, v25
	v_fmac_f32_e32 v30, v23, v39
	s_delay_alu instid0(VALU_DEP_3) | instskip(SKIP_1) | instid1(VALU_DEP_2)
	v_div_fmas_f32 v11, v11, v13, v12
	s_mov_b32 vcc_lo, s3
	v_fma_f32 v10, -v34, v30, v27
	v_div_fixup_f32 v12, v18, v16, v22
	v_add_f32_e32 v6, v8, v6
	v_div_fixup_f32 v8, v11, v24, v14
	v_div_fixup_f32 v11, v29, v16, v20
	v_div_fmas_f32 v10, v10, v39, v30
	v_div_fixup_f32 v13, v21, v16, v17
	v_add_f32_e32 v12, v15, v12
	v_add_f32_e32 v6, v8, v6
	v_cmp_lt_f32_e32 vcc_lo, v3, v7
	v_div_fixup_f32 v1, v10, v16, v1
	v_add_f32_e32 v10, v11, v9
	v_add_f32_e32 v4, v4, v13
	v_mov_b32_e32 v9, v12
	v_cndmask_b32_e32 v3, v3, v7, vcc_lo
	v_add_f32_e32 v11, v1, v6
	v_mov_b32_e32 v1, v16
.LBB16_115:
	s_or_b32 exec_lo, exec_lo, s7
	s_delay_alu instid0(SALU_CYCLE_1)
	s_mov_b32 s2, exec_lo
	v_cmpx_eq_u32_e32 0, v5
	s_cbranch_execz .LBB16_117
; %bb.116:
	v_lshrrev_b32_e32 v6, 5, v0
	s_delay_alu instid0(VALU_DEP_1)
	v_mul_u32_u24_e32 v6, 28, v6
	ds_store_2addr_b32 v6, v1, v2 offset1:1
	ds_store_2addr_b32 v6, v3, v4 offset0:2 offset1:3
	ds_store_2addr_b32 v6, v9, v10 offset0:4 offset1:5
	ds_store_b32 v6, v11 offset:24
.LBB16_117:
	s_or_b32 exec_lo, exec_lo, s2
	s_delay_alu instid0(SALU_CYCLE_1)
	s_mov_b32 s7, exec_lo
	s_waitcnt lgkmcnt(0)
	s_barrier
	buffer_gl0_inv
	v_cmpx_gt_u32_e32 8, v0
	s_cbranch_execz .LBB16_125
; %bb.118:
	v_mul_u32_u24_e32 v7, 28, v5
	s_add_i32 s6, s6, 31
	ds_load_2addr_b32 v[1:2], v7 offset1:1
	ds_load_2addr_b32 v[3:4], v7 offset0:2 offset1:3
	ds_load_2addr_b32 v[9:10], v7 offset0:4 offset1:5
	ds_load_b32 v11, v7 offset:24
	v_and_b32_e32 v6, 7, v5
	s_lshr_b32 s6, s6, 5
	s_waitcnt lgkmcnt(1)
	v_mov_b32_e32 v17, v10
	s_delay_alu instid0(VALU_DEP_2) | instskip(SKIP_2) | instid1(VALU_DEP_1)
	v_cmp_ne_u32_e32 vcc_lo, 7, v6
	v_mov_b32_e32 v16, v9
	v_add_co_ci_u32_e32 v7, vcc_lo, 0, v5, vcc_lo
	v_lshlrev_b32_e32 v7, 2, v7
	ds_bpermute_b32 v14, v7, v1
	ds_bpermute_b32 v18, v7, v2
	ds_bpermute_b32 v8, v7, v3
	ds_bpermute_b32 v19, v7, v4
	ds_bpermute_b32 v15, v7, v9
	ds_bpermute_b32 v13, v7, v10
	s_waitcnt lgkmcnt(6)
	ds_bpermute_b32 v12, v7, v11
	v_add_nc_u32_e32 v7, 1, v6
	s_delay_alu instid0(VALU_DEP_1)
	v_cmp_gt_u32_e32 vcc_lo, s6, v7
	v_mov_b32_e32 v7, v1
	s_and_saveexec_b32 s8, vcc_lo
	s_cbranch_execz .LBB16_120
; %bb.119:
	s_waitcnt lgkmcnt(3)
	v_dual_sub_f32 v16, v19, v4 :: v_dual_add_f32 v7, v1, v14
	v_cmp_gt_f32_e32 vcc_lo, v2, v18
	v_mul_f32_e32 v24, v1, v1
	s_delay_alu instid0(VALU_DEP_3) | instskip(SKIP_3) | instid1(VALU_DEP_3)
	v_dual_sub_f32 v20, v1, v14 :: v_dual_mul_f32 v19, v16, v16
	v_mul_f32_e32 v21, v9, v14
	s_waitcnt lgkmcnt(2)
	v_dual_cndmask_b32 v2, v2, v18 :: v_dual_add_f32 v17, v9, v15
	v_dual_mul_f32 v18, v16, v14 :: v_dual_mul_f32 v23, v1, v19
	v_mul_f32_e32 v26, v16, v19
	v_mul_f32_e32 v25, v7, v7
	v_fma_f32 v21, v1, v15, -v21
	s_delay_alu instid0(VALU_DEP_4) | instskip(SKIP_1) | instid1(VALU_DEP_4)
	v_div_scale_f32 v22, null, v7, v7, v18
	v_dual_mul_f32 v23, v23, v14 :: v_dual_mul_f32 v28, 0x40400000, v16
	v_dual_mul_f32 v29, v1, v26 :: v_dual_mul_f32 v32, v7, v25
	s_delay_alu instid0(VALU_DEP_3) | instskip(NEXT) | instid1(VALU_DEP_2)
	v_rcp_f32_e32 v27, v22
	v_div_scale_f32 v30, null, v7, v7, v23
	s_delay_alu instid0(VALU_DEP_2) | instskip(SKIP_1) | instid1(VALU_DEP_3)
	v_mul_f32_e32 v29, v29, v14
	v_div_scale_f32 v35, vcc_lo, v18, v7, v18
	v_rcp_f32_e32 v34, v30
	v_mul_f32_e32 v26, v16, v26
	v_mul_f32_e32 v16, 4.0, v16
	v_div_scale_f32 v36, s2, v23, v7, v23
	s_delay_alu instid0(TRANS32_DEP_2)
	v_fma_f32 v33, -v22, v27, 1.0
	v_mul_f32_e32 v20, v20, v29
	v_fma_f32 v31, -v1, v14, v24
	v_mul_f32_e32 v15, v24, v15
	v_mul_f32_e32 v19, 0x40c00000, v19
	v_fmac_f32_e32 v27, v33, v27
	v_fma_f32 v33, -v30, v34, 1.0
	v_mul_f32_e32 v21, v28, v21
	v_div_scale_f32 v28, null, v25, v25, v20
	s_delay_alu instid0(VALU_DEP_3) | instskip(NEXT) | instid1(VALU_DEP_3)
	v_dual_mul_f32 v29, v35, v27 :: v_dual_fmac_f32 v34, v33, v34
	v_div_scale_f32 v33, null, v7, v7, v21
	s_delay_alu instid0(VALU_DEP_3) | instskip(NEXT) | instid1(VALU_DEP_2)
	v_rcp_f32_e32 v37, v28
	v_fma_f32 v38, -v22, v29, v35
	v_mul_f32_e32 v26, v1, v26
	s_delay_alu instid0(VALU_DEP_3) | instskip(SKIP_4) | instid1(TRANS32_DEP_2)
	v_rcp_f32_e32 v39, v33
	s_waitcnt lgkmcnt(0)
	v_add_f32_e32 v11, v11, v12
	v_dual_fmac_f32 v29, v38, v27 :: v_dual_mul_f32 v38, v36, v34
	v_mul_f32_e32 v26, v26, v14
	v_fma_f32 v40, -v28, v37, 1.0
	s_delay_alu instid0(VALU_DEP_3) | instskip(NEXT) | instid1(VALU_DEP_4)
	v_fma_f32 v22, -v22, v29, v35
	v_fma_f32 v35, -v30, v38, v36
	s_delay_alu instid0(VALU_DEP_3) | instskip(NEXT) | instid1(VALU_DEP_3)
	v_fmac_f32_e32 v37, v40, v37
	v_div_fmas_f32 v22, v22, v27, v29
	v_mul_f32_e32 v27, v14, v14
	s_delay_alu instid0(VALU_DEP_4) | instskip(SKIP_1) | instid1(VALU_DEP_2)
	v_fmac_f32_e32 v38, v35, v34
	s_mov_b32 vcc_lo, s2
	v_fmac_f32_e32 v15, v9, v27
	v_div_scale_f32 v9, s3, v20, v25, v20
	v_fmac_f32_e32 v31, v14, v14
	s_delay_alu instid0(VALU_DEP_3) | instskip(SKIP_1) | instid1(VALU_DEP_4)
	v_dual_mul_f32 v14, v10, v14 :: v_dual_mul_f32 v15, v19, v15
	v_fma_f32 v19, -v30, v38, v36
	v_mul_f32_e32 v30, v9, v37
	v_fma_f32 v27, -v33, v39, 1.0
	s_delay_alu instid0(VALU_DEP_4) | instskip(SKIP_2) | instid1(VALU_DEP_4)
	v_fma_f32 v1, v1, v13, -v14
	v_mul_f32_e32 v26, v31, v26
	v_div_scale_f32 v31, s4, v21, v7, v21
	v_fmac_f32_e32 v39, v27, v39
	s_delay_alu instid0(VALU_DEP_4) | instskip(SKIP_4) | instid1(VALU_DEP_4)
	v_mul_f32_e32 v1, v16, v1
	v_fma_f32 v16, -v28, v30, v9
	v_div_scale_f32 v24, null, v32, v32, v26
	v_div_fmas_f32 v19, v19, v34, v38
	v_div_scale_f32 v36, s2, v26, v32, v26
	v_fmac_f32_e32 v30, v16, v37
	v_div_scale_f32 v27, null, v25, v25, v15
	v_rcp_f32_e32 v29, v24
	s_mov_b32 vcc_lo, s3
	s_delay_alu instid0(VALU_DEP_2) | instskip(NEXT) | instid1(VALU_DEP_2)
	v_fma_f32 v9, -v28, v30, v9
	v_rcp_f32_e32 v14, v27
	s_delay_alu instid0(VALU_DEP_1)
	v_div_fmas_f32 v9, v9, v37, v30
	s_mov_b32 vcc_lo, s4
	s_waitcnt_depctr 0xfff
	v_fma_f32 v35, -v24, v29, 1.0
	v_div_fixup_f32 v9, v9, v25, v20
	v_fma_f32 v38, -v27, v14, 1.0
	s_delay_alu instid0(VALU_DEP_1) | instskip(SKIP_2) | instid1(VALU_DEP_2)
	v_fmac_f32_e32 v14, v38, v14
	v_mul_f32_e32 v34, v31, v39
	v_div_scale_f32 v38, s5, v15, v25, v15
	v_fma_f32 v16, -v33, v34, v31
	v_fmac_f32_e32 v29, v35, v29
	v_div_scale_f32 v35, null, v7, v7, v1
	s_delay_alu instid0(VALU_DEP_3) | instskip(NEXT) | instid1(VALU_DEP_3)
	v_fmac_f32_e32 v34, v16, v39
	v_dual_mul_f32 v41, v36, v29 :: v_dual_mul_f32 v16, v38, v14
	s_delay_alu instid0(VALU_DEP_3) | instskip(NEXT) | instid1(VALU_DEP_2)
	v_rcp_f32_e32 v40, v35
	v_fma_f32 v30, -v33, v34, v31
	s_delay_alu instid0(VALU_DEP_1) | instskip(SKIP_3) | instid1(VALU_DEP_1)
	v_div_fmas_f32 v30, v30, v39, v34
	s_mov_b32 vcc_lo, s2
	s_waitcnt_depctr 0xfff
	v_fma_f32 v28, -v35, v40, 1.0
	v_fmac_f32_e32 v40, v28, v40
	v_div_scale_f32 v28, s3, v1, v7, v1
	v_add_f32_e32 v10, v10, v13
	v_fma_f32 v13, -v24, v41, v36
	s_delay_alu instid0(VALU_DEP_3) | instskip(NEXT) | instid1(VALU_DEP_3)
	v_mul_f32_e32 v31, v28, v40
	v_add_f32_e32 v9, v10, v9
	s_delay_alu instid0(VALU_DEP_3) | instskip(SKIP_1) | instid1(VALU_DEP_2)
	v_fmac_f32_e32 v41, v13, v29
	v_fma_f32 v13, -v27, v16, v38
	v_fma_f32 v24, -v24, v41, v36
	s_delay_alu instid0(VALU_DEP_2) | instskip(NEXT) | instid1(VALU_DEP_2)
	v_fmac_f32_e32 v16, v13, v14
	v_div_fmas_f32 v13, v24, v29, v41
	v_fma_f32 v24, -v35, v31, v28
	s_delay_alu instid0(VALU_DEP_3) | instskip(SKIP_1) | instid1(VALU_DEP_3)
	v_fma_f32 v12, -v27, v16, v38
	s_mov_b32 vcc_lo, s5
	v_div_fixup_f32 v13, v13, v32, v26
	s_delay_alu instid0(VALU_DEP_2) | instskip(SKIP_2) | instid1(VALU_DEP_4)
	v_div_fmas_f32 v12, v12, v14, v16
	v_div_fixup_f32 v14, v19, v7, v23
	v_fmac_f32_e32 v31, v24, v40
	v_add_f32_e32 v11, v11, v13
	v_div_fixup_f32 v13, v30, v7, v21
	s_mov_b32 vcc_lo, s3
	v_add_f32_e32 v16, v17, v14
	v_fma_f32 v10, -v35, v31, v28
	v_div_fixup_f32 v12, v12, v25, v15
	v_add_f32_e32 v17, v13, v9
	v_div_fixup_f32 v15, v22, v7, v18
	v_mov_b32_e32 v9, v16
	v_div_fmas_f32 v10, v10, v40, v31
	v_cmp_lt_f32_e32 vcc_lo, v3, v8
	s_delay_alu instid0(VALU_DEP_4) | instskip(NEXT) | instid1(VALU_DEP_3)
	v_add_f32_e32 v4, v4, v15
	v_div_fixup_f32 v1, v10, v7, v1
	v_dual_mov_b32 v10, v17 :: v_dual_add_f32 v11, v12, v11
	v_cndmask_b32_e32 v3, v3, v8, vcc_lo
	s_delay_alu instid0(VALU_DEP_2)
	v_add_f32_e32 v11, v1, v11
	v_mov_b32_e32 v1, v7
.LBB16_120:
	s_or_b32 exec_lo, exec_lo, s8
	v_cmp_gt_u32_e32 vcc_lo, 6, v6
	v_add_nc_u32_e32 v20, 2, v6
	s_mov_b32 s8, exec_lo
	s_waitcnt lgkmcnt(4)
	v_cndmask_b32_e64 v8, 0, 1, vcc_lo
	s_delay_alu instid0(VALU_DEP_1) | instskip(SKIP_1) | instid1(VALU_DEP_1)
	v_lshlrev_b32_e32 v8, 1, v8
	s_waitcnt lgkmcnt(0)
	v_add_lshl_u32 v12, v8, v5, 2
	ds_bpermute_b32 v14, v12, v7
	ds_bpermute_b32 v18, v12, v2
	;; [unrolled: 1-line block ×7, first 2 shown]
	v_cmpx_gt_u32_e64 s6, v20
	s_cbranch_execz .LBB16_122
; %bb.121:
	s_waitcnt lgkmcnt(3)
	v_dual_sub_f32 v16, v19, v4 :: v_dual_add_f32 v7, v1, v14
	v_cmp_gt_f32_e32 vcc_lo, v2, v18
	v_mul_f32_e32 v24, v1, v1
	s_delay_alu instid0(VALU_DEP_3) | instskip(SKIP_3) | instid1(VALU_DEP_3)
	v_dual_sub_f32 v20, v1, v14 :: v_dual_mul_f32 v19, v16, v16
	v_mul_f32_e32 v21, v9, v14
	s_waitcnt lgkmcnt(2)
	v_dual_cndmask_b32 v2, v2, v18 :: v_dual_add_f32 v17, v9, v15
	v_dual_mul_f32 v18, v16, v14 :: v_dual_mul_f32 v23, v1, v19
	v_mul_f32_e32 v26, v16, v19
	v_mul_f32_e32 v25, v7, v7
	v_fma_f32 v21, v1, v15, -v21
	s_delay_alu instid0(VALU_DEP_4) | instskip(SKIP_1) | instid1(VALU_DEP_4)
	v_div_scale_f32 v22, null, v7, v7, v18
	v_dual_mul_f32 v23, v23, v14 :: v_dual_mul_f32 v28, 0x40400000, v16
	v_dual_mul_f32 v29, v1, v26 :: v_dual_mul_f32 v32, v7, v25
	s_delay_alu instid0(VALU_DEP_3) | instskip(NEXT) | instid1(VALU_DEP_2)
	v_rcp_f32_e32 v27, v22
	v_div_scale_f32 v30, null, v7, v7, v23
	s_delay_alu instid0(VALU_DEP_2) | instskip(SKIP_1) | instid1(VALU_DEP_3)
	v_mul_f32_e32 v29, v29, v14
	v_div_scale_f32 v35, vcc_lo, v18, v7, v18
	v_rcp_f32_e32 v34, v30
	v_mul_f32_e32 v26, v16, v26
	v_mul_f32_e32 v16, 4.0, v16
	v_div_scale_f32 v36, s2, v23, v7, v23
	s_delay_alu instid0(TRANS32_DEP_2)
	v_fma_f32 v33, -v22, v27, 1.0
	v_mul_f32_e32 v20, v20, v29
	v_fma_f32 v31, -v1, v14, v24
	v_mul_f32_e32 v15, v24, v15
	v_mul_f32_e32 v19, 0x40c00000, v19
	v_fmac_f32_e32 v27, v33, v27
	v_fma_f32 v33, -v30, v34, 1.0
	v_mul_f32_e32 v21, v28, v21
	v_div_scale_f32 v28, null, v25, v25, v20
	s_delay_alu instid0(VALU_DEP_3) | instskip(NEXT) | instid1(VALU_DEP_3)
	v_dual_mul_f32 v29, v35, v27 :: v_dual_fmac_f32 v34, v33, v34
	v_div_scale_f32 v33, null, v7, v7, v21
	s_delay_alu instid0(VALU_DEP_3) | instskip(NEXT) | instid1(VALU_DEP_2)
	v_rcp_f32_e32 v37, v28
	v_fma_f32 v38, -v22, v29, v35
	v_mul_f32_e32 v26, v1, v26
	s_delay_alu instid0(VALU_DEP_3) | instskip(SKIP_4) | instid1(TRANS32_DEP_2)
	v_rcp_f32_e32 v39, v33
	s_waitcnt lgkmcnt(0)
	v_add_f32_e32 v11, v11, v12
	v_dual_fmac_f32 v29, v38, v27 :: v_dual_mul_f32 v38, v36, v34
	v_mul_f32_e32 v26, v26, v14
	v_fma_f32 v40, -v28, v37, 1.0
	s_delay_alu instid0(VALU_DEP_3) | instskip(NEXT) | instid1(VALU_DEP_4)
	v_fma_f32 v22, -v22, v29, v35
	v_fma_f32 v35, -v30, v38, v36
	s_delay_alu instid0(VALU_DEP_3) | instskip(NEXT) | instid1(VALU_DEP_3)
	v_fmac_f32_e32 v37, v40, v37
	v_div_fmas_f32 v22, v22, v27, v29
	v_mul_f32_e32 v27, v14, v14
	s_delay_alu instid0(VALU_DEP_4) | instskip(SKIP_1) | instid1(VALU_DEP_2)
	v_fmac_f32_e32 v38, v35, v34
	s_mov_b32 vcc_lo, s2
	v_fmac_f32_e32 v15, v9, v27
	v_div_scale_f32 v9, s3, v20, v25, v20
	v_fmac_f32_e32 v31, v14, v14
	s_delay_alu instid0(VALU_DEP_3) | instskip(SKIP_1) | instid1(VALU_DEP_4)
	v_dual_mul_f32 v14, v10, v14 :: v_dual_mul_f32 v15, v19, v15
	v_fma_f32 v19, -v30, v38, v36
	v_mul_f32_e32 v30, v9, v37
	v_fma_f32 v27, -v33, v39, 1.0
	s_delay_alu instid0(VALU_DEP_4) | instskip(SKIP_2) | instid1(VALU_DEP_4)
	v_fma_f32 v1, v1, v13, -v14
	v_mul_f32_e32 v26, v31, v26
	v_div_scale_f32 v31, s4, v21, v7, v21
	v_fmac_f32_e32 v39, v27, v39
	s_delay_alu instid0(VALU_DEP_4) | instskip(SKIP_4) | instid1(VALU_DEP_4)
	v_mul_f32_e32 v1, v16, v1
	v_fma_f32 v16, -v28, v30, v9
	v_div_scale_f32 v24, null, v32, v32, v26
	v_div_fmas_f32 v19, v19, v34, v38
	v_div_scale_f32 v36, s2, v26, v32, v26
	v_fmac_f32_e32 v30, v16, v37
	v_div_scale_f32 v27, null, v25, v25, v15
	v_rcp_f32_e32 v29, v24
	s_mov_b32 vcc_lo, s3
	s_delay_alu instid0(VALU_DEP_2) | instskip(NEXT) | instid1(VALU_DEP_2)
	v_fma_f32 v9, -v28, v30, v9
	v_rcp_f32_e32 v14, v27
	s_delay_alu instid0(VALU_DEP_1)
	v_div_fmas_f32 v9, v9, v37, v30
	s_mov_b32 vcc_lo, s4
	s_waitcnt_depctr 0xfff
	v_fma_f32 v35, -v24, v29, 1.0
	v_div_fixup_f32 v9, v9, v25, v20
	v_fma_f32 v38, -v27, v14, 1.0
	s_delay_alu instid0(VALU_DEP_1) | instskip(SKIP_2) | instid1(VALU_DEP_2)
	v_fmac_f32_e32 v14, v38, v14
	v_mul_f32_e32 v34, v31, v39
	v_div_scale_f32 v38, s5, v15, v25, v15
	v_fma_f32 v16, -v33, v34, v31
	v_fmac_f32_e32 v29, v35, v29
	v_div_scale_f32 v35, null, v7, v7, v1
	s_delay_alu instid0(VALU_DEP_3) | instskip(NEXT) | instid1(VALU_DEP_3)
	v_fmac_f32_e32 v34, v16, v39
	v_dual_mul_f32 v41, v36, v29 :: v_dual_mul_f32 v16, v38, v14
	s_delay_alu instid0(VALU_DEP_3) | instskip(NEXT) | instid1(VALU_DEP_2)
	v_rcp_f32_e32 v40, v35
	v_fma_f32 v30, -v33, v34, v31
	s_delay_alu instid0(VALU_DEP_1) | instskip(SKIP_3) | instid1(VALU_DEP_1)
	v_div_fmas_f32 v30, v30, v39, v34
	s_mov_b32 vcc_lo, s2
	s_waitcnt_depctr 0xfff
	v_fma_f32 v28, -v35, v40, 1.0
	v_fmac_f32_e32 v40, v28, v40
	v_div_scale_f32 v28, s3, v1, v7, v1
	v_add_f32_e32 v10, v10, v13
	v_fma_f32 v13, -v24, v41, v36
	s_delay_alu instid0(VALU_DEP_3) | instskip(NEXT) | instid1(VALU_DEP_3)
	v_mul_f32_e32 v31, v28, v40
	v_add_f32_e32 v9, v10, v9
	s_delay_alu instid0(VALU_DEP_3) | instskip(SKIP_1) | instid1(VALU_DEP_2)
	v_fmac_f32_e32 v41, v13, v29
	v_fma_f32 v13, -v27, v16, v38
	v_fma_f32 v24, -v24, v41, v36
	s_delay_alu instid0(VALU_DEP_2) | instskip(NEXT) | instid1(VALU_DEP_2)
	v_fmac_f32_e32 v16, v13, v14
	v_div_fmas_f32 v13, v24, v29, v41
	v_fma_f32 v24, -v35, v31, v28
	s_delay_alu instid0(VALU_DEP_3) | instskip(SKIP_1) | instid1(VALU_DEP_3)
	v_fma_f32 v12, -v27, v16, v38
	s_mov_b32 vcc_lo, s5
	v_div_fixup_f32 v13, v13, v32, v26
	s_delay_alu instid0(VALU_DEP_2) | instskip(SKIP_2) | instid1(VALU_DEP_4)
	v_div_fmas_f32 v12, v12, v14, v16
	v_div_fixup_f32 v14, v19, v7, v23
	v_fmac_f32_e32 v31, v24, v40
	v_add_f32_e32 v11, v11, v13
	v_div_fixup_f32 v13, v30, v7, v21
	s_mov_b32 vcc_lo, s3
	v_add_f32_e32 v16, v17, v14
	v_fma_f32 v10, -v35, v31, v28
	v_div_fixup_f32 v12, v12, v25, v15
	v_add_f32_e32 v17, v13, v9
	v_div_fixup_f32 v15, v22, v7, v18
	v_mov_b32_e32 v9, v16
	v_div_fmas_f32 v10, v10, v40, v31
	v_cmp_lt_f32_e32 vcc_lo, v3, v8
	s_delay_alu instid0(VALU_DEP_4) | instskip(NEXT) | instid1(VALU_DEP_3)
	v_add_f32_e32 v4, v4, v15
	v_div_fixup_f32 v1, v10, v7, v1
	v_dual_mov_b32 v10, v17 :: v_dual_add_f32 v11, v12, v11
	v_cndmask_b32_e32 v3, v3, v8, vcc_lo
	s_delay_alu instid0(VALU_DEP_2)
	v_add_f32_e32 v11, v1, v11
	v_mov_b32_e32 v1, v7
.LBB16_122:
	s_or_b32 exec_lo, exec_lo, s8
	v_cmp_gt_u32_e32 vcc_lo, 4, v6
	v_add_nc_u32_e32 v6, 4, v6
	s_mov_b32 s8, exec_lo
	s_waitcnt lgkmcnt(4)
	v_cndmask_b32_e64 v8, 0, 1, vcc_lo
	s_delay_alu instid0(VALU_DEP_1) | instskip(SKIP_1) | instid1(VALU_DEP_1)
	v_lshlrev_b32_e32 v8, 2, v8
	s_waitcnt lgkmcnt(0)
	v_add_lshl_u32 v12, v8, v5, 2
	ds_bpermute_b32 v13, v12, v7
	ds_bpermute_b32 v14, v12, v2
	ds_bpermute_b32 v5, v12, v3
	ds_bpermute_b32 v15, v12, v4
	ds_bpermute_b32 v8, v12, v16
	ds_bpermute_b32 v7, v12, v17
	ds_bpermute_b32 v12, v12, v11
	v_cmpx_gt_u32_e64 s6, v6
	s_cbranch_execz .LBB16_124
; %bb.123:
	s_waitcnt lgkmcnt(3)
	v_dual_sub_f32 v6, v15, v4 :: v_dual_add_f32 v15, v1, v13
	v_cmp_gt_f32_e32 vcc_lo, v2, v14
	v_mul_f32_e32 v20, v1, v1
	v_mul_f32_e32 v17, v9, v13
	s_delay_alu instid0(VALU_DEP_4)
	v_mul_f32_e32 v25, 0x40400000, v6
	v_dual_mul_f32 v21, v15, v15 :: v_dual_cndmask_b32 v2, v2, v14
	v_mul_f32_e32 v14, v6, v13
	v_fma_f32 v27, -v1, v13, v20
	s_waitcnt lgkmcnt(2)
	v_fma_f32 v17, v1, v8, -v17
	v_mul_f32_e32 v18, v6, v6
	v_div_scale_f32 v19, null, v15, v15, v14
	s_delay_alu instid0(VALU_DEP_3) | instskip(NEXT) | instid1(VALU_DEP_3)
	v_mul_f32_e32 v17, v25, v17
	v_dual_sub_f32 v16, v1, v13 :: v_dual_mul_f32 v23, v6, v18
	s_delay_alu instid0(VALU_DEP_3) | instskip(SKIP_2) | instid1(VALU_DEP_3)
	v_rcp_f32_e32 v24, v19
	v_mul_f32_e32 v22, v1, v18
	v_div_scale_f32 v31, vcc_lo, v14, v15, v14
	v_mul_f32_e32 v26, v1, v23
	v_mul_f32_e32 v23, v6, v23
	s_delay_alu instid0(VALU_DEP_4) | instskip(SKIP_2) | instid1(TRANS32_DEP_1)
	v_mul_f32_e32 v22, v22, v13
	v_mul_f32_e32 v6, 4.0, v6
	v_dual_mul_f32 v18, 0x40c00000, v18 :: v_dual_fmac_f32 v27, v13, v13
	v_fma_f32 v30, -v19, v24, 1.0
	v_mul_f32_e32 v23, v1, v23
	v_div_scale_f32 v29, null, v15, v15, v22
	v_div_scale_f32 v36, s2, v22, v15, v22
	s_delay_alu instid0(VALU_DEP_3) | instskip(SKIP_1) | instid1(VALU_DEP_4)
	v_dual_fmac_f32 v24, v30, v24 :: v_dual_mul_f32 v23, v23, v13
	v_mul_f32_e32 v26, v26, v13
	v_rcp_f32_e32 v32, v29
	v_div_scale_f32 v30, null, v15, v15, v17
	s_delay_alu instid0(VALU_DEP_2) | instskip(SKIP_1) | instid1(VALU_DEP_1)
	v_dual_mul_f32 v23, v27, v23 :: v_dual_mul_f32 v16, v16, v26
	v_mul_f32_e32 v26, v31, v24
	v_fma_f32 v35, -v19, v26, v31
	s_waitcnt_depctr 0xfff
	v_fma_f32 v33, -v29, v32, 1.0
	v_fmac_f32_e32 v26, v35, v24
	s_delay_alu instid0(VALU_DEP_2) | instskip(SKIP_1) | instid1(VALU_DEP_2)
	v_fmac_f32_e32 v32, v33, v32
	v_rcp_f32_e32 v33, v30
	v_fma_f32 v19, -v19, v26, v31
	v_mul_f32_e32 v31, v13, v13
	v_div_scale_f32 v25, null, v21, v21, v16
	v_mul_f32_e32 v13, v10, v13
	s_delay_alu instid0(VALU_DEP_4) | instskip(SKIP_1) | instid1(VALU_DEP_3)
	v_div_fmas_f32 v19, v19, v24, v26
	s_mov_b32 vcc_lo, s2
	v_rcp_f32_e32 v34, v25
	s_delay_alu instid0(TRANS32_DEP_2)
	v_fma_f32 v27, -v30, v33, 1.0
	s_waitcnt lgkmcnt(1)
	v_fma_f32 v1, v1, v7, -v13
	v_mul_f32_e32 v20, v20, v8
	v_div_fixup_f32 v14, v19, v15, v14
	v_div_scale_f32 v19, s3, v16, v21, v16
	s_delay_alu instid0(VALU_DEP_3)
	v_dual_mul_f32 v1, v6, v1 :: v_dual_fmac_f32 v20, v9, v31
	v_fmac_f32_e32 v33, v27, v33
	v_dual_mul_f32 v28, v15, v21 :: v_dual_mul_f32 v35, v36, v32
	v_fma_f32 v37, -v25, v34, 1.0
	v_add_f32_e32 v8, v9, v8
	s_waitcnt lgkmcnt(0)
	v_add_f32_e32 v9, v11, v12
	v_div_scale_f32 v24, null, v28, v28, v23
	v_fma_f32 v26, -v29, v35, v36
	v_fmac_f32_e32 v34, v37, v34
	v_mul_f32_e32 v18, v18, v20
	s_delay_alu instid0(VALU_DEP_4) | instskip(SKIP_1) | instid1(VALU_DEP_3)
	v_rcp_f32_e32 v31, v24
	v_add_f32_e32 v7, v10, v7
	v_dual_fmac_f32 v35, v26, v32 :: v_dual_mul_f32 v20, v19, v34
	s_delay_alu instid0(VALU_DEP_3) | instskip(SKIP_1) | instid1(VALU_DEP_3)
	v_div_scale_f32 v26, null, v21, v21, v18
	v_div_scale_f32 v27, s4, v17, v15, v17
	v_fma_f32 v13, -v29, v35, v36
	s_delay_alu instid0(VALU_DEP_3) | instskip(SKIP_1) | instid1(TRANS32_DEP_2)
	v_rcp_f32_e32 v38, v26
	v_fma_f32 v29, -v25, v20, v19
	v_fma_f32 v37, -v24, v31, 1.0
	v_div_scale_f32 v6, s5, v23, v28, v23
	v_div_fmas_f32 v13, v13, v32, v35
	s_delay_alu instid0(VALU_DEP_4) | instskip(NEXT) | instid1(VALU_DEP_4)
	v_fmac_f32_e32 v20, v29, v34
	v_fmac_f32_e32 v31, v37, v31
	s_mov_b32 vcc_lo, s3
	v_div_scale_f32 v41, s6, v18, v21, v18
	s_delay_alu instid0(TRANS32_DEP_1) | instskip(SKIP_3) | instid1(VALU_DEP_4)
	v_fma_f32 v37, -v26, v38, 1.0
	v_fma_f32 v19, -v25, v20, v19
	v_div_scale_f32 v39, null, v15, v15, v1
	v_add_f32_e32 v4, v4, v14
	v_fmac_f32_e32 v38, v37, v38
	v_mul_f32_e32 v36, v27, v33
	v_div_fmas_f32 v19, v19, v34, v20
	v_rcp_f32_e32 v37, v39
	s_mov_b32 vcc_lo, s4
	s_delay_alu instid0(VALU_DEP_2) | instskip(NEXT) | instid1(VALU_DEP_2)
	v_fma_f32 v29, -v30, v36, v27
	v_div_fixup_f32 v10, v19, v21, v16
	v_mul_f32_e32 v40, v6, v31
	s_delay_alu instid0(VALU_DEP_2) | instskip(NEXT) | instid1(VALU_DEP_2)
	v_dual_fmac_f32 v36, v29, v33 :: v_dual_add_f32 v7, v7, v10
	v_fma_f32 v25, -v24, v40, v6
	v_mul_f32_e32 v29, v41, v38
	s_delay_alu instid0(TRANS32_DEP_1) | instskip(NEXT) | instid1(VALU_DEP_4)
	v_fma_f32 v32, -v39, v37, 1.0
	v_fma_f32 v20, -v30, v36, v27
	v_div_scale_f32 v27, s2, v1, v15, v1
	v_fmac_f32_e32 v40, v25, v31
	v_fma_f32 v25, -v26, v29, v41
	s_delay_alu instid0(VALU_DEP_4)
	v_div_fmas_f32 v20, v20, v33, v36
	s_mov_b32 vcc_lo, s5
	v_fmac_f32_e32 v37, v32, v37
	v_fma_f32 v6, -v24, v40, v6
	v_fmac_f32_e32 v29, v25, v38
	v_div_fixup_f32 v10, v20, v15, v17
	s_delay_alu instid0(VALU_DEP_3) | instskip(NEXT) | instid1(VALU_DEP_3)
	v_div_fmas_f32 v6, v6, v31, v40
	v_fma_f32 v11, -v26, v29, v41
	s_mov_b32 vcc_lo, s6
	s_delay_alu instid0(VALU_DEP_3) | instskip(NEXT) | instid1(VALU_DEP_3)
	v_add_f32_e32 v10, v10, v7
	v_div_fixup_f32 v6, v6, v28, v23
	s_delay_alu instid0(VALU_DEP_3) | instskip(SKIP_1) | instid1(VALU_DEP_2)
	v_div_fmas_f32 v11, v11, v38, v29
	s_mov_b32 vcc_lo, s2
	v_add_f32_e32 v6, v9, v6
	s_delay_alu instid0(VALU_DEP_2) | instskip(NEXT) | instid1(VALU_DEP_1)
	v_div_fixup_f32 v9, v11, v21, v18
	v_add_f32_e32 v6, v9, v6
	v_mul_f32_e32 v24, v27, v37
	s_delay_alu instid0(VALU_DEP_1) | instskip(NEXT) | instid1(VALU_DEP_1)
	v_fma_f32 v25, -v39, v24, v27
	v_fmac_f32_e32 v24, v25, v37
	s_delay_alu instid0(VALU_DEP_1) | instskip(NEXT) | instid1(VALU_DEP_1)
	v_fma_f32 v12, -v39, v24, v27
	v_div_fmas_f32 v11, v12, v37, v24
	v_div_fixup_f32 v12, v13, v15, v22
	v_cmp_lt_f32_e32 vcc_lo, v3, v5
	s_delay_alu instid0(VALU_DEP_3) | instskip(NEXT) | instid1(VALU_DEP_3)
	v_div_fixup_f32 v1, v11, v15, v1
	v_add_f32_e32 v9, v8, v12
	v_cndmask_b32_e32 v3, v3, v5, vcc_lo
	s_delay_alu instid0(VALU_DEP_3)
	v_add_f32_e32 v11, v1, v6
	v_mov_b32_e32 v1, v15
.LBB16_124:
	s_or_b32 exec_lo, exec_lo, s8
.LBB16_125:
	s_delay_alu instid0(SALU_CYCLE_1)
	s_or_b32 exec_lo, exec_lo, s7
.LBB16_126:
	s_delay_alu instid0(SALU_CYCLE_1)
	s_mov_b32 s7, exec_lo
                                        ; implicit-def: $vgpr14
                                        ; implicit-def: $vgpr8
	v_cmpx_eq_u32_e32 0, v0
	s_cbranch_execz .LBB16_130
; %bb.127:
	s_waitcnt lgkmcnt(5)
	v_dual_mov_b32 v14, s18 :: v_dual_mov_b32 v13, s17
	s_waitcnt lgkmcnt(0)
	v_dual_mov_b32 v12, s16 :: v_dual_mov_b32 v7, s14
	v_dual_mov_b32 v8, s15 :: v_dual_mov_b32 v5, s12
	v_mov_b32_e32 v6, s13
	s_cmp_eq_u64 s[22:23], 0
	s_cbranch_scc1 .LBB16_129
; %bb.128:
	v_dual_subrev_f32 v0, s15, v4 :: v_dual_add_f32 v5, s12, v1
	v_cmp_gt_f32_e32 vcc_lo, s13, v2
	v_mul_f32_e32 v7, s16, v1
	v_mul_f32_e64 v13, s12, s12
	s_delay_alu instid0(VALU_DEP_4)
	v_mul_f32_e32 v8, v0, v0
	v_sub_f32_e32 v4, s12, v1
	v_mul_f32_e32 v18, v5, v5
	v_fma_f32 v7, s12, v9, -v7
	v_fma_f32 v21, -s12, v1, v13
	v_mul_f32_e32 v15, s12, v8
	v_cndmask_b32_e32 v6, s13, v2, vcc_lo
	v_dual_mul_f32 v2, v0, v1 :: v_dual_mul_f32 v19, 0x40400000, v0
	v_mul_f32_e32 v14, v1, v1
	s_delay_alu instid0(VALU_DEP_4) | instskip(SKIP_1) | instid1(VALU_DEP_4)
	v_mul_f32_e32 v15, v15, v1
	v_add_f32_e32 v11, s18, v11
	v_div_scale_f32 v12, null, v5, v5, v2
	v_mul_f32_e32 v7, v19, v7
	s_delay_alu instid0(VALU_DEP_4) | instskip(NEXT) | instid1(VALU_DEP_3)
	v_div_scale_f32 v22, null, v5, v5, v15
	v_rcp_f32_e32 v17, v12
	v_div_scale_f32 v24, vcc_lo, v2, v5, v2
	s_delay_alu instid0(VALU_DEP_2) | instskip(SKIP_3) | instid1(VALU_DEP_3)
	v_rcp_f32_e32 v25, v22
	v_mul_f32_e32 v14, s16, v14
	v_div_scale_f32 v29, s2, v15, v5, v15
	v_fmac_f32_e32 v21, v1, v1
	v_fmac_f32_e32 v14, v13, v9
	s_delay_alu instid0(TRANS32_DEP_2) | instskip(SKIP_2) | instid1(TRANS32_DEP_1)
	v_fma_f32 v23, -v12, v17, 1.0
	v_mul_f32_e32 v16, v0, v8
	v_mul_f32_e32 v8, 0x40c00000, v8
	v_fma_f32 v26, -v22, v25, 1.0
	v_add_f32_e32 v9, s16, v9
	s_delay_alu instid0(VALU_DEP_4) | instskip(NEXT) | instid1(VALU_DEP_3)
	v_dual_fmac_f32 v17, v23, v17 :: v_dual_mul_f32 v20, s12, v16
	v_dual_mul_f32 v16, v0, v16 :: v_dual_fmac_f32 v25, v26, v25
	v_div_scale_f32 v26, null, v5, v5, v7
	s_delay_alu instid0(VALU_DEP_3) | instskip(SKIP_1) | instid1(VALU_DEP_4)
	v_dual_mul_f32 v23, v24, v17 :: v_dual_mul_f32 v20, v1, v20
	v_mul_f32_e32 v8, v8, v14
	v_mul_f32_e32 v16, s12, v16
	v_mul_f32_e32 v0, 4.0, v0
	s_delay_alu instid0(VALU_DEP_4) | instskip(SKIP_1) | instid1(VALU_DEP_2)
	v_fma_f32 v28, -v12, v23, v24
	v_mul_f32_e32 v4, v4, v20
	v_fmac_f32_e32 v23, v28, v17
	s_delay_alu instid0(VALU_DEP_2) | instskip(NEXT) | instid1(VALU_DEP_2)
	v_div_scale_f32 v19, null, v18, v18, v4
	v_fma_f32 v12, -v12, v23, v24
	s_delay_alu instid0(VALU_DEP_2) | instskip(SKIP_1) | instid1(VALU_DEP_1)
	v_rcp_f32_e32 v27, v19
	v_rcp_f32_e32 v24, v26
	v_div_fmas_f32 v12, v12, v17, v23
	s_mov_b32 vcc_lo, s2
	s_delay_alu instid0(VALU_DEP_1) | instskip(SKIP_3) | instid1(VALU_DEP_2)
	v_div_fixup_f32 v2, v12, v5, v2
	s_waitcnt_depctr 0xfff
	v_fma_f32 v30, -v19, v27, 1.0
	v_fma_f32 v13, -v26, v24, 1.0
	v_dual_fmac_f32 v27, v30, v27 :: v_dual_mul_f32 v20, v5, v18
	v_div_scale_f32 v35, s6, v8, v18, v8
	v_div_scale_f32 v12, s3, v4, v18, v4
	s_delay_alu instid0(VALU_DEP_4) | instskip(SKIP_1) | instid1(VALU_DEP_3)
	v_fmac_f32_e32 v24, v13, v24
	v_div_scale_f32 v13, null, v18, v18, v8
	v_mul_f32_e32 v14, v12, v27
	s_delay_alu instid0(VALU_DEP_2) | instskip(SKIP_1) | instid1(VALU_DEP_1)
	v_rcp_f32_e32 v31, v13
	v_dual_mul_f32 v16, v1, v16 :: v_dual_mul_f32 v1, s17, v1
	v_mul_f32_e32 v16, v21, v16
	s_delay_alu instid0(VALU_DEP_2) | instskip(SKIP_1) | instid1(VALU_DEP_3)
	v_fma_f32 v1, s12, v10, -v1
	v_add_f32_e32 v10, s17, v10
	v_div_scale_f32 v17, null, v20, v20, v16
	s_delay_alu instid0(VALU_DEP_3) | instskip(SKIP_1) | instid1(VALU_DEP_3)
	v_mul_f32_e32 v0, v0, v1
	v_div_scale_f32 v1, s5, v16, v20, v16
	v_rcp_f32_e32 v23, v17
	s_delay_alu instid0(VALU_DEP_2) | instskip(SKIP_2) | instid1(VALU_DEP_1)
	v_div_scale_f32 v33, null, v5, v5, v0
	s_waitcnt_depctr 0xfff
	v_fma_f32 v30, -v17, v23, 1.0
	v_fmac_f32_e32 v23, v30, v23
	v_fma_f32 v30, -v13, v31, 1.0
	s_delay_alu instid0(VALU_DEP_2) | instskip(NEXT) | instid1(VALU_DEP_2)
	v_mul_f32_e32 v34, v1, v23
	v_dual_fmac_f32 v31, v30, v31 :: v_dual_mul_f32 v28, v29, v25
	v_rcp_f32_e32 v30, v33
	s_delay_alu instid0(VALU_DEP_1) | instskip(NEXT) | instid1(VALU_DEP_1)
	v_fma_f32 v21, -v22, v28, v29
	v_fmac_f32_e32 v28, v21, v25
	v_div_scale_f32 v21, s4, v7, v5, v7
	s_delay_alu instid0(VALU_DEP_2) | instskip(SKIP_1) | instid1(VALU_DEP_3)
	v_fma_f32 v22, -v22, v28, v29
	v_fma_f32 v29, -v19, v14, v12
	v_mul_f32_e32 v32, v21, v24
	s_delay_alu instid0(VALU_DEP_3) | instskip(NEXT) | instid1(VALU_DEP_3)
	v_div_fmas_f32 v22, v22, v25, v28
	v_fmac_f32_e32 v14, v29, v27
	s_delay_alu instid0(VALU_DEP_3)
	v_fma_f32 v29, -v26, v32, v21
	v_fma_f32 v28, -v33, v30, 1.0
	s_mov_b32 vcc_lo, s3
	v_mul_f32_e32 v25, v35, v31
	v_fma_f32 v12, -v19, v14, v12
	v_fmac_f32_e32 v32, v29, v24
	v_fma_f32 v19, -v17, v34, v1
	v_fmac_f32_e32 v30, v28, v30
	s_delay_alu instid0(VALU_DEP_4) | instskip(NEXT) | instid1(VALU_DEP_4)
	v_div_fmas_f32 v12, v12, v27, v14
	v_fma_f32 v14, -v26, v32, v21
	s_delay_alu instid0(VALU_DEP_4) | instskip(SKIP_3) | instid1(VALU_DEP_3)
	v_fmac_f32_e32 v34, v19, v23
	v_div_scale_f32 v21, s2, v0, v5, v0
	v_fma_f32 v19, -v13, v25, v35
	s_mov_b32 vcc_lo, s4
	v_fma_f32 v1, -v17, v34, v1
	s_delay_alu instid0(VALU_DEP_3)
	v_mul_f32_e32 v17, v21, v30
	v_div_fmas_f32 v14, v14, v24, v32
	v_fmac_f32_e32 v25, v19, v31
	s_mov_b32 vcc_lo, s5
	v_div_fixup_f32 v4, v12, v18, v4
	v_fma_f32 v19, -v33, v17, v21
	v_div_fmas_f32 v1, v1, v23, v34
	v_fma_f32 v13, -v13, v25, v35
	s_mov_b32 vcc_lo, s6
	s_delay_alu instid0(VALU_DEP_3) | instskip(NEXT) | instid1(VALU_DEP_3)
	v_dual_add_f32 v4, v10, v4 :: v_dual_fmac_f32 v17, v19, v30
	v_div_fixup_f32 v1, v1, v20, v16
	s_delay_alu instid0(VALU_DEP_3)
	v_div_fmas_f32 v13, v13, v31, v25
	s_mov_b32 vcc_lo, s2
	v_div_fixup_f32 v10, v14, v5, v7
	v_fma_f32 v12, -v33, v17, v21
	v_add_f32_e32 v1, v11, v1
	v_div_fixup_f32 v8, v13, v18, v8
	s_delay_alu instid0(VALU_DEP_4) | instskip(NEXT) | instid1(VALU_DEP_4)
	v_add_f32_e32 v13, v10, v4
	v_div_fmas_f32 v11, v12, v30, v17
	v_div_fixup_f32 v12, v22, v5, v15
	s_delay_alu instid0(VALU_DEP_4) | instskip(SKIP_4) | instid1(VALU_DEP_2)
	v_add_f32_e32 v1, v8, v1
	v_cmp_lt_f32_e32 vcc_lo, s14, v3
	v_add_f32_e32 v8, s15, v2
	v_div_fixup_f32 v0, v11, v5, v0
	v_dual_add_f32 v12, v9, v12 :: v_dual_cndmask_b32 v7, s14, v3
	v_add_f32_e32 v14, v0, v1
.LBB16_129:
	s_or_b32 s19, s19, exec_lo
.LBB16_130:
	s_or_b32 exec_lo, exec_lo, s7
	s_and_saveexec_b32 s2, s19
	s_cbranch_execz .LBB16_101
.LBB16_131:
	s_load_b64 s[0:1], s[0:1], 0x18
	s_mul_i32 s2, s11, 28
	s_mul_hi_u32 s3, s10, 28
	s_mul_i32 s4, s10, 28
	v_mov_b32_e32 v0, 0
	s_add_i32 s3, s3, s2
	s_waitcnt lgkmcnt(0)
	s_add_u32 s0, s0, s4
	s_addc_u32 s1, s1, s3
	s_clause 0x1
	global_store_b128 v0, v[5:8], s[0:1]
	global_store_b96 v0, v[12:14], s[0:1] offset:16
	s_nop 0
	s_sendmsg sendmsg(MSG_DEALLOC_VGPRS)
	s_endpgm
.LBB16_132:
	v_mad_u64_u32 v[20:21], null, v5, 28, s[24:25]
	s_clause 0x1
	global_load_b128 v[5:8], v[20:21], off
	global_load_b96 v[20:22], v[20:21], off offset:16
	s_or_b32 exec_lo, exec_lo, s4
	s_and_saveexec_b32 s24, vcc_lo
	s_cbranch_execz .LBB16_29
.LBB16_133:
	s_waitcnt vmcnt(1)
	v_dual_sub_f32 v16, v16, v4 :: v_dual_add_f32 v29, v1, v13
	v_cmp_lt_f32_e32 vcc_lo, v14, v2
	s_waitcnt vmcnt(0)
	v_dual_mul_f32 v34, v17, v13 :: v_dual_add_f32 v19, v19, v28
	s_delay_alu instid0(VALU_DEP_3) | instskip(SKIP_1) | instid1(VALU_DEP_2)
	v_dual_mul_f32 v32, v16, v16 :: v_dual_mul_f32 v35, v1, v1
	v_dual_cndmask_b32 v2, v2, v14 :: v_dual_sub_f32 v31, v1, v13
	v_dual_mul_f32 v14, v16, v13 :: v_dual_mul_f32 v37, v1, v32
	s_delay_alu instid0(VALU_DEP_3) | instskip(SKIP_1) | instid1(VALU_DEP_3)
	v_fma_f32 v43, -v1, v13, v35
	v_dual_add_f32 v30, v17, v26 :: v_dual_mul_f32 v39, v16, v32
	v_div_scale_f32 v33, null, v29, v29, v14
	v_mul_f32_e32 v41, 0x40400000, v16
	v_fma_f32 v34, v1, v26, -v34
	v_div_scale_f32 v46, vcc_lo, v14, v29, v14
	s_delay_alu instid0(VALU_DEP_4) | instskip(SKIP_1) | instid1(VALU_DEP_3)
	v_rcp_f32_e32 v38, v33
	v_dual_fmac_f32 v43, v13, v13 :: v_dual_mul_f32 v32, 0x40c00000, v32
	v_mul_f32_e32 v34, v41, v34
	v_mul_f32_e32 v37, v13, v37
	s_delay_alu instid0(VALU_DEP_1) | instskip(SKIP_4) | instid1(VALU_DEP_2)
	v_div_scale_f32 v44, null, v29, v29, v37
	s_waitcnt_depctr 0xfff
	v_fma_f32 v45, -v33, v38, 1.0
	v_div_scale_f32 v50, s4, v37, v29, v37
	v_rcp_f32_e32 v47, v44
	v_fmac_f32_e32 v38, v45, v38
	s_delay_alu instid0(VALU_DEP_1)
	v_dual_mul_f32 v40, v29, v29 :: v_dual_mul_f32 v41, v46, v38
	s_waitcnt_depctr 0xfff
	v_fma_f32 v45, -v44, v47, 1.0
	v_fma_f32 v48, -v33, v41, v46
	v_mul_f32_e32 v42, v1, v39
	v_mul_f32_e32 v39, v16, v39
	s_delay_alu instid0(VALU_DEP_4) | instskip(NEXT) | instid1(VALU_DEP_4)
	v_dual_fmac_f32 v47, v45, v47 :: v_dual_mul_f32 v16, 4.0, v16
	v_fmac_f32_e32 v41, v48, v38
	s_delay_alu instid0(VALU_DEP_4) | instskip(SKIP_2) | instid1(VALU_DEP_4)
	v_mul_f32_e32 v42, v13, v42
	v_mul_f32_e32 v36, v13, v13
	;; [unrolled: 1-line block ×3, first 2 shown]
	v_fma_f32 v33, -v33, v41, v46
	s_delay_alu instid0(VALU_DEP_4) | instskip(NEXT) | instid1(VALU_DEP_1)
	v_dual_mul_f32 v31, v31, v42 :: v_dual_mul_f32 v46, v50, v47
	v_div_scale_f32 v42, null, v40, v40, v31
	s_delay_alu instid0(VALU_DEP_1) | instskip(SKIP_2) | instid1(VALU_DEP_1)
	v_rcp_f32_e32 v49, v42
	s_waitcnt_depctr 0xfff
	v_fma_f32 v48, -v42, v49, 1.0
	v_fmac_f32_e32 v49, v48, v49
	v_mul_f32_e32 v17, v17, v36
	v_mul_f32_e32 v36, v29, v40
	v_div_scale_f32 v45, null, v29, v29, v34
	s_delay_alu instid0(VALU_DEP_3) | instskip(SKIP_1) | instid1(VALU_DEP_2)
	v_fmac_f32_e32 v17, v35, v26
	v_div_scale_f32 v26, s5, v31, v40, v31
	v_mul_f32_e32 v17, v32, v17
	s_delay_alu instid0(VALU_DEP_2) | instskip(NEXT) | instid1(VALU_DEP_1)
	v_dual_mul_f32 v32, v26, v49 :: v_dual_mul_f32 v39, v13, v39
	v_mul_f32_e32 v39, v43, v39
	v_div_fmas_f32 v33, v33, v38, v41
	v_rcp_f32_e32 v38, v45
	v_fma_f32 v41, -v44, v46, v50
	s_mov_b32 vcc_lo, s4
	s_delay_alu instid0(VALU_DEP_2) | instskip(SKIP_1) | instid1(VALU_DEP_3)
	v_div_fixup_f32 v14, v33, v29, v14
	v_div_scale_f32 v33, null, v36, v36, v39
	v_fmac_f32_e32 v46, v41, v47
	v_div_scale_f32 v41, s6, v34, v29, v34
	s_waitcnt_depctr 0xfff
	v_fma_f32 v35, -v45, v38, 1.0
	v_rcp_f32_e32 v43, v33
	v_div_scale_f32 v54, s8, v17, v40, v17
	v_add_f32_e32 v4, v4, v14
	s_delay_alu instid0(VALU_DEP_3) | instskip(SKIP_2) | instid1(VALU_DEP_3)
	v_dual_fmac_f32 v38, v35, v38 :: v_dual_mul_f32 v13, v18, v13
	v_div_scale_f32 v35, null, v40, v40, v17
	v_add_f32_e32 v18, v18, v27
	v_fma_f32 v1, v1, v27, -v13
	v_fma_f32 v13, -v44, v46, v50
	v_mul_f32_e32 v50, v41, v38
	v_fma_f32 v44, -v42, v32, v26
	v_rcp_f32_e32 v51, v35
	v_fma_f32 v48, -v33, v43, 1.0
	v_div_fmas_f32 v13, v13, v47, v46
	s_mov_b32 vcc_lo, s5
	v_fmac_f32_e32 v32, v44, v49
	v_fma_f32 v44, -v45, v50, v41
	v_fmac_f32_e32 v43, v48, v43
	v_div_fixup_f32 v13, v13, v29, v37
	s_delay_alu instid0(VALU_DEP_4) | instskip(NEXT) | instid1(TRANS32_DEP_1)
	v_fma_f32 v26, -v42, v32, v26
	v_fma_f32 v48, -v35, v51, 1.0
	v_fmac_f32_e32 v50, v44, v38
	s_delay_alu instid0(VALU_DEP_3) | instskip(SKIP_1) | instid1(VALU_DEP_1)
	v_div_fmas_f32 v26, v26, v49, v32
	s_mov_b32 vcc_lo, s6
	v_div_fixup_f32 v26, v26, v40, v31
	s_delay_alu instid0(VALU_DEP_1) | instskip(NEXT) | instid1(VALU_DEP_1)
	v_dual_fmac_f32 v51, v48, v51 :: v_dual_add_f32 v18, v18, v26
	v_dual_mul_f32 v1, v16, v1 :: v_dual_mul_f32 v44, v54, v51
	v_div_scale_f32 v16, s7, v39, v36, v39
	s_delay_alu instid0(VALU_DEP_2) | instskip(NEXT) | instid1(VALU_DEP_1)
	v_div_scale_f32 v52, null, v29, v29, v1
	v_rcp_f32_e32 v48, v52
	s_waitcnt_depctr 0xfff
	v_fma_f32 v46, -v52, v48, 1.0
	s_delay_alu instid0(VALU_DEP_1) | instskip(NEXT) | instid1(VALU_DEP_1)
	v_dual_fmac_f32 v48, v46, v48 :: v_dual_mul_f32 v53, v16, v43
	v_fma_f32 v42, -v33, v53, v16
	s_delay_alu instid0(VALU_DEP_1) | instskip(SKIP_3) | instid1(VALU_DEP_4)
	v_fmac_f32_e32 v53, v42, v43
	v_div_scale_f32 v42, s4, v1, v29, v1
	v_fma_f32 v32, -v45, v50, v41
	v_fma_f32 v41, -v35, v44, v54
	;; [unrolled: 1-line block ×3, first 2 shown]
	s_delay_alu instid0(VALU_DEP_4) | instskip(NEXT) | instid1(VALU_DEP_4)
	v_mul_f32_e32 v33, v42, v48
	v_div_fmas_f32 v32, v32, v38, v50
	s_delay_alu instid0(VALU_DEP_4) | instskip(SKIP_1) | instid1(VALU_DEP_3)
	v_fmac_f32_e32 v44, v41, v51
	s_mov_b32 vcc_lo, s7
	v_fma_f32 v38, -v52, v33, v42
	v_div_fmas_f32 v16, v16, v43, v53
	s_mov_b32 vcc_lo, s8
	v_fma_f32 v28, -v35, v44, v54
	v_div_fixup_f32 v26, v32, v29, v34
	v_fmac_f32_e32 v33, v38, v48
	v_div_fixup_f32 v16, v16, v36, v39
	s_delay_alu instid0(VALU_DEP_4) | instskip(SKIP_1) | instid1(VALU_DEP_3)
	v_div_fmas_f32 v28, v28, v51, v44
	s_mov_b32 vcc_lo, s4
	v_fma_f32 v27, -v52, v33, v42
	s_delay_alu instid0(VALU_DEP_3)
	v_add_f32_e32 v16, v19, v16
	v_add_f32_e32 v18, v26, v18
	v_div_fixup_f32 v17, v28, v40, v17
	v_add_f32_e32 v13, v30, v13
	v_div_fmas_f32 v19, v27, v48, v33
	v_cmp_lt_f32_e32 vcc_lo, v3, v15
	s_delay_alu instid0(VALU_DEP_4) | instskip(NEXT) | instid1(VALU_DEP_4)
	v_add_f32_e32 v16, v17, v16
	v_mov_b32_e32 v17, v13
	s_delay_alu instid0(VALU_DEP_4) | instskip(SKIP_1) | instid1(VALU_DEP_2)
	v_div_fixup_f32 v1, v19, v29, v1
	v_cndmask_b32_e32 v3, v3, v15, vcc_lo
	v_add_f32_e32 v19, v1, v16
	v_mov_b32_e32 v1, v29
	s_or_b32 exec_lo, exec_lo, s24
	s_and_saveexec_b32 s8, s3
	s_cbranch_execz .LBB16_30
.LBB16_134:
	s_waitcnt vmcnt(1)
	v_dual_sub_f32 v12, v12, v4 :: v_dual_add_f32 v13, v9, v1
	v_cmp_lt_f32_e32 vcc_lo, v10, v2
	s_waitcnt vmcnt(0)
	v_mul_f32_e32 v27, v9, v17
	s_delay_alu instid0(VALU_DEP_3) | instskip(SKIP_3) | instid1(VALU_DEP_4)
	v_dual_sub_f32 v15, v1, v9 :: v_dual_mul_f32 v16, v12, v12
	v_dual_mul_f32 v29, v9, v9 :: v_dual_cndmask_b32 v2, v2, v10
	v_mul_f32_e32 v10, v9, v12
	v_dual_mul_f32 v33, v13, v13 :: v_dual_mul_f32 v34, 0x40400000, v12
	v_mul_f32_e32 v32, v12, v16
	v_add_f32_e32 v14, v23, v17
	s_delay_alu instid0(VALU_DEP_4) | instskip(SKIP_1) | instid1(VALU_DEP_4)
	v_div_scale_f32 v26, null, v13, v13, v10
	v_fma_f32 v27, v23, v1, -v27
	v_dual_mul_f32 v35, v1, v32 :: v_dual_mul_f32 v30, v16, v1
	s_delay_alu instid0(VALU_DEP_3) | instskip(SKIP_1) | instid1(VALU_DEP_3)
	v_rcp_f32_e32 v31, v26
	v_add_f32_e32 v19, v25, v19
	v_mul_f32_e32 v27, v34, v27
	s_delay_alu instid0(VALU_DEP_3) | instskip(NEXT) | instid1(VALU_DEP_1)
	v_mul_f32_e32 v35, v9, v35
	v_dual_mul_f32 v28, v1, v1 :: v_dual_mul_f32 v15, v15, v35
	s_delay_alu instid0(VALU_DEP_1)
	v_dual_mul_f32 v30, v9, v30 :: v_dual_mul_f32 v23, v23, v28
	s_waitcnt_depctr 0xfff
	v_fma_f32 v38, -v26, v31, 1.0
	v_fma_f32 v36, -v9, v1, v28
	v_mul_f32_e32 v28, v13, v33
	v_div_scale_f32 v37, null, v13, v13, v30
	s_delay_alu instid0(VALU_DEP_4) | instskip(SKIP_1) | instid1(VALU_DEP_3)
	v_fmac_f32_e32 v31, v38, v31
	v_div_scale_f32 v39, vcc_lo, v10, v13, v10
	v_rcp_f32_e32 v40, v37
	v_fmac_f32_e32 v23, v29, v17
	v_div_scale_f32 v35, null, v33, v33, v15
	s_delay_alu instid0(VALU_DEP_3) | instskip(SKIP_1) | instid1(VALU_DEP_3)
	v_mul_f32_e32 v34, v39, v31
	v_div_scale_f32 v43, s3, v30, v13, v30
	v_rcp_f32_e32 v42, v35
	v_div_scale_f32 v17, s4, v15, v33, v15
	s_delay_alu instid0(VALU_DEP_3) | instskip(NEXT) | instid1(TRANS32_DEP_2)
	v_fma_f32 v41, -v26, v34, v39
	v_fma_f32 v38, -v37, v40, 1.0
	s_delay_alu instid0(VALU_DEP_2) | instskip(NEXT) | instid1(VALU_DEP_2)
	v_fmac_f32_e32 v34, v41, v31
	v_fmac_f32_e32 v40, v38, v40
	v_div_scale_f32 v38, null, v13, v13, v27
	s_delay_alu instid0(TRANS32_DEP_1) | instskip(NEXT) | instid1(VALU_DEP_4)
	v_fma_f32 v41, -v35, v42, 1.0
	v_fma_f32 v26, -v26, v34, v39
	s_delay_alu instid0(VALU_DEP_1) | instskip(NEXT) | instid1(VALU_DEP_4)
	v_div_fmas_f32 v26, v26, v31, v34
	v_rcp_f32_e32 v31, v38
	s_mov_b32 vcc_lo, s3
	s_delay_alu instid0(VALU_DEP_1) | instskip(NEXT) | instid1(VALU_DEP_1)
	v_div_fixup_f32 v10, v26, v13, v10
	v_add_f32_e32 v4, v4, v10
	s_waitcnt_depctr 0xfff
	v_fma_f32 v29, -v38, v31, 1.0
	s_delay_alu instid0(VALU_DEP_1) | instskip(SKIP_1) | instid1(VALU_DEP_1)
	v_fmac_f32_e32 v31, v29, v31
	v_dual_fmac_f32 v36, v9, v9 :: v_dual_mul_f32 v39, v43, v40
	v_fma_f32 v34, -v37, v39, v43
	s_delay_alu instid0(VALU_DEP_1) | instskip(SKIP_3) | instid1(VALU_DEP_2)
	v_dual_fmac_f32 v42, v41, v42 :: v_dual_fmac_f32 v39, v34, v40
	v_mul_f32_e32 v32, v12, v32
	v_mul_f32_e32 v16, 0x40c00000, v16
	v_div_scale_f32 v34, s5, v27, v13, v27
	v_dual_mul_f32 v16, v16, v23 :: v_dual_mul_f32 v23, v17, v42
	s_delay_alu instid0(VALU_DEP_4) | instskip(NEXT) | instid1(VALU_DEP_2)
	v_mul_f32_e32 v32, v1, v32
	v_div_scale_f32 v29, null, v33, v33, v16
	s_delay_alu instid0(VALU_DEP_2) | instskip(SKIP_2) | instid1(VALU_DEP_4)
	v_mul_f32_e32 v32, v9, v32
	v_mul_f32_e32 v9, v9, v18
	v_div_scale_f32 v47, s7, v16, v33, v16
	v_rcp_f32_e32 v44, v29
	s_delay_alu instid0(VALU_DEP_3) | instskip(NEXT) | instid1(VALU_DEP_3)
	v_mul_f32_e32 v32, v36, v32
	v_fma_f32 v1, v24, v1, -v9
	v_fma_f32 v9, -v37, v39, v43
	v_fma_f32 v37, -v35, v23, v17
	v_mul_f32_e32 v43, v34, v31
	v_div_scale_f32 v26, null, v28, v28, v32
	s_delay_alu instid0(VALU_DEP_4) | instskip(NEXT) | instid1(VALU_DEP_4)
	v_div_fmas_f32 v9, v9, v40, v39
	v_fmac_f32_e32 v23, v37, v42
	s_delay_alu instid0(VALU_DEP_4) | instskip(NEXT) | instid1(VALU_DEP_4)
	v_fma_f32 v37, -v38, v43, v34
	v_rcp_f32_e32 v36, v26
	v_mul_f32_e32 v12, 4.0, v12
	v_div_fixup_f32 v9, v9, v13, v30
	v_fma_f32 v17, -v35, v23, v17
	v_fmac_f32_e32 v43, v37, v31
	s_mov_b32 vcc_lo, s4
	v_mul_f32_e32 v1, v12, v1
	v_div_scale_f32 v12, s6, v32, v28, v32
	v_add_f32_e32 v9, v14, v9
	s_delay_alu instid0(TRANS32_DEP_1) | instskip(NEXT) | instid1(VALU_DEP_4)
	v_fma_f32 v41, -v26, v36, 1.0
	v_div_scale_f32 v45, null, v13, v13, v1
	v_div_fmas_f32 v17, v17, v42, v23
	v_fma_f32 v23, -v38, v43, v34
	s_delay_alu instid0(VALU_DEP_4)
	v_fmac_f32_e32 v36, v41, v36
	v_fma_f32 v41, -v29, v44, 1.0
	s_mov_b32 vcc_lo, s5
	v_div_fixup_f32 v15, v17, v33, v15
	v_div_fmas_f32 v23, v23, v31, v43
	v_mul_f32_e32 v46, v12, v36
	v_fmac_f32_e32 v44, v41, v44
	v_rcp_f32_e32 v41, v45
	s_mov_b32 vcc_lo, s6
	v_add_f32_e32 v18, v24, v18
	v_fma_f32 v35, -v26, v46, v12
	v_mul_f32_e32 v37, v47, v44
	s_delay_alu instid0(VALU_DEP_2) | instskip(NEXT) | instid1(VALU_DEP_2)
	v_fmac_f32_e32 v46, v35, v36
	v_fma_f32 v34, -v29, v37, v47
	s_waitcnt_depctr 0xfff
	v_fma_f32 v39, -v45, v41, 1.0
	v_div_scale_f32 v35, s3, v1, v13, v1
	v_fma_f32 v12, -v26, v46, v12
	v_fmac_f32_e32 v37, v34, v44
	s_delay_alu instid0(VALU_DEP_4) | instskip(NEXT) | instid1(VALU_DEP_3)
	v_fmac_f32_e32 v41, v39, v41
	v_div_fmas_f32 v12, v12, v36, v46
	s_delay_alu instid0(VALU_DEP_3) | instskip(NEXT) | instid1(VALU_DEP_3)
	v_fma_f32 v25, -v29, v37, v47
	v_mul_f32_e32 v26, v35, v41
	s_mov_b32 vcc_lo, s7
	s_delay_alu instid0(VALU_DEP_3) | instskip(NEXT) | instid1(VALU_DEP_3)
	v_div_fixup_f32 v12, v12, v28, v32
	v_div_fmas_f32 v25, v25, v44, v37
	s_delay_alu instid0(VALU_DEP_3) | instskip(SKIP_1) | instid1(VALU_DEP_3)
	v_fma_f32 v31, -v45, v26, v35
	s_mov_b32 vcc_lo, s3
	v_add_f32_e32 v12, v19, v12
	s_delay_alu instid0(VALU_DEP_3) | instskip(NEXT) | instid1(VALU_DEP_1)
	v_div_fixup_f32 v16, v25, v33, v16
	v_add_f32_e32 v12, v16, v12
	v_fmac_f32_e32 v26, v31, v41
	s_delay_alu instid0(VALU_DEP_1) | instskip(NEXT) | instid1(VALU_DEP_1)
	v_fma_f32 v17, -v45, v26, v35
	v_div_fmas_f32 v17, v17, v41, v26
	v_cmp_lt_f32_e32 vcc_lo, v3, v11
	s_delay_alu instid0(VALU_DEP_2) | instskip(SKIP_2) | instid1(VALU_DEP_3)
	v_div_fixup_f32 v1, v17, v13, v1
	v_cndmask_b32_e32 v3, v3, v11, vcc_lo
	v_mov_b32_e32 v17, v9
	v_add_f32_e32 v19, v1, v12
	v_dual_mov_b32 v1, v13 :: v_dual_add_f32 v14, v18, v15
	v_div_fixup_f32 v15, v23, v13, v27
	s_delay_alu instid0(VALU_DEP_1)
	v_add_f32_e32 v18, v15, v14
	s_or_b32 exec_lo, exec_lo, s8
	s_and_saveexec_b32 s7, s2
	s_cbranch_execnz .LBB16_31
	s_branch .LBB16_32
	.section	.rodata,"a",@progbits
	.p2align	6, 0x0
	.amdhsa_kernel _ZN7rocprim17ROCPRIM_400000_NS6detail17trampoline_kernelINS0_14default_configENS1_22reduce_config_selectorI18summary_stats_dataIfEEEZNS1_11reduce_implILb1ES3_PS6_S9_S6_23summary_stats_binary_opIfEEE10hipError_tPvRmT1_T2_T3_mT4_P12ihipStream_tbEUlT_E1_NS1_11comp_targetILNS1_3genE9ELNS1_11target_archE1100ELNS1_3gpuE3ELNS1_3repE0EEENS1_30default_config_static_selectorELNS0_4arch9wavefront6targetE0EEEvSF_
		.amdhsa_group_segment_fixed_size 896
		.amdhsa_private_segment_fixed_size 0
		.amdhsa_kernarg_size 64
		.amdhsa_user_sgpr_count 15
		.amdhsa_user_sgpr_dispatch_ptr 0
		.amdhsa_user_sgpr_queue_ptr 0
		.amdhsa_user_sgpr_kernarg_segment_ptr 1
		.amdhsa_user_sgpr_dispatch_id 0
		.amdhsa_user_sgpr_private_segment_size 0
		.amdhsa_wavefront_size32 1
		.amdhsa_uses_dynamic_stack 0
		.amdhsa_enable_private_segment 0
		.amdhsa_system_sgpr_workgroup_id_x 1
		.amdhsa_system_sgpr_workgroup_id_y 0
		.amdhsa_system_sgpr_workgroup_id_z 0
		.amdhsa_system_sgpr_workgroup_info 0
		.amdhsa_system_vgpr_workitem_id 0
		.amdhsa_next_free_vgpr 84
		.amdhsa_next_free_sgpr 27
		.amdhsa_reserve_vcc 1
		.amdhsa_float_round_mode_32 0
		.amdhsa_float_round_mode_16_64 0
		.amdhsa_float_denorm_mode_32 3
		.amdhsa_float_denorm_mode_16_64 3
		.amdhsa_dx10_clamp 1
		.amdhsa_ieee_mode 1
		.amdhsa_fp16_overflow 0
		.amdhsa_workgroup_processor_mode 1
		.amdhsa_memory_ordered 1
		.amdhsa_forward_progress 0
		.amdhsa_shared_vgpr_count 0
		.amdhsa_exception_fp_ieee_invalid_op 0
		.amdhsa_exception_fp_denorm_src 0
		.amdhsa_exception_fp_ieee_div_zero 0
		.amdhsa_exception_fp_ieee_overflow 0
		.amdhsa_exception_fp_ieee_underflow 0
		.amdhsa_exception_fp_ieee_inexact 0
		.amdhsa_exception_int_div_zero 0
	.end_amdhsa_kernel
	.section	.text._ZN7rocprim17ROCPRIM_400000_NS6detail17trampoline_kernelINS0_14default_configENS1_22reduce_config_selectorI18summary_stats_dataIfEEEZNS1_11reduce_implILb1ES3_PS6_S9_S6_23summary_stats_binary_opIfEEE10hipError_tPvRmT1_T2_T3_mT4_P12ihipStream_tbEUlT_E1_NS1_11comp_targetILNS1_3genE9ELNS1_11target_archE1100ELNS1_3gpuE3ELNS1_3repE0EEENS1_30default_config_static_selectorELNS0_4arch9wavefront6targetE0EEEvSF_,"axG",@progbits,_ZN7rocprim17ROCPRIM_400000_NS6detail17trampoline_kernelINS0_14default_configENS1_22reduce_config_selectorI18summary_stats_dataIfEEEZNS1_11reduce_implILb1ES3_PS6_S9_S6_23summary_stats_binary_opIfEEE10hipError_tPvRmT1_T2_T3_mT4_P12ihipStream_tbEUlT_E1_NS1_11comp_targetILNS1_3genE9ELNS1_11target_archE1100ELNS1_3gpuE3ELNS1_3repE0EEENS1_30default_config_static_selectorELNS0_4arch9wavefront6targetE0EEEvSF_,comdat
.Lfunc_end16:
	.size	_ZN7rocprim17ROCPRIM_400000_NS6detail17trampoline_kernelINS0_14default_configENS1_22reduce_config_selectorI18summary_stats_dataIfEEEZNS1_11reduce_implILb1ES3_PS6_S9_S6_23summary_stats_binary_opIfEEE10hipError_tPvRmT1_T2_T3_mT4_P12ihipStream_tbEUlT_E1_NS1_11comp_targetILNS1_3genE9ELNS1_11target_archE1100ELNS1_3gpuE3ELNS1_3repE0EEENS1_30default_config_static_selectorELNS0_4arch9wavefront6targetE0EEEvSF_, .Lfunc_end16-_ZN7rocprim17ROCPRIM_400000_NS6detail17trampoline_kernelINS0_14default_configENS1_22reduce_config_selectorI18summary_stats_dataIfEEEZNS1_11reduce_implILb1ES3_PS6_S9_S6_23summary_stats_binary_opIfEEE10hipError_tPvRmT1_T2_T3_mT4_P12ihipStream_tbEUlT_E1_NS1_11comp_targetILNS1_3genE9ELNS1_11target_archE1100ELNS1_3gpuE3ELNS1_3repE0EEENS1_30default_config_static_selectorELNS0_4arch9wavefront6targetE0EEEvSF_
                                        ; -- End function
	.section	.AMDGPU.csdata,"",@progbits
; Kernel info:
; codeLenInByte = 58176
; NumSgprs: 29
; NumVgprs: 84
; ScratchSize: 0
; MemoryBound: 1
; FloatMode: 240
; IeeeMode: 1
; LDSByteSize: 896 bytes/workgroup (compile time only)
; SGPRBlocks: 3
; VGPRBlocks: 10
; NumSGPRsForWavesPerEU: 29
; NumVGPRsForWavesPerEU: 84
; Occupancy: 16
; WaveLimiterHint : 1
; COMPUTE_PGM_RSRC2:SCRATCH_EN: 0
; COMPUTE_PGM_RSRC2:USER_SGPR: 15
; COMPUTE_PGM_RSRC2:TRAP_HANDLER: 0
; COMPUTE_PGM_RSRC2:TGID_X_EN: 1
; COMPUTE_PGM_RSRC2:TGID_Y_EN: 0
; COMPUTE_PGM_RSRC2:TGID_Z_EN: 0
; COMPUTE_PGM_RSRC2:TIDIG_COMP_CNT: 0
	.section	.text._ZN7rocprim17ROCPRIM_400000_NS6detail17trampoline_kernelINS0_14default_configENS1_22reduce_config_selectorI18summary_stats_dataIfEEEZNS1_11reduce_implILb1ES3_PS6_S9_S6_23summary_stats_binary_opIfEEE10hipError_tPvRmT1_T2_T3_mT4_P12ihipStream_tbEUlT_E1_NS1_11comp_targetILNS1_3genE8ELNS1_11target_archE1030ELNS1_3gpuE2ELNS1_3repE0EEENS1_30default_config_static_selectorELNS0_4arch9wavefront6targetE0EEEvSF_,"axG",@progbits,_ZN7rocprim17ROCPRIM_400000_NS6detail17trampoline_kernelINS0_14default_configENS1_22reduce_config_selectorI18summary_stats_dataIfEEEZNS1_11reduce_implILb1ES3_PS6_S9_S6_23summary_stats_binary_opIfEEE10hipError_tPvRmT1_T2_T3_mT4_P12ihipStream_tbEUlT_E1_NS1_11comp_targetILNS1_3genE8ELNS1_11target_archE1030ELNS1_3gpuE2ELNS1_3repE0EEENS1_30default_config_static_selectorELNS0_4arch9wavefront6targetE0EEEvSF_,comdat
	.protected	_ZN7rocprim17ROCPRIM_400000_NS6detail17trampoline_kernelINS0_14default_configENS1_22reduce_config_selectorI18summary_stats_dataIfEEEZNS1_11reduce_implILb1ES3_PS6_S9_S6_23summary_stats_binary_opIfEEE10hipError_tPvRmT1_T2_T3_mT4_P12ihipStream_tbEUlT_E1_NS1_11comp_targetILNS1_3genE8ELNS1_11target_archE1030ELNS1_3gpuE2ELNS1_3repE0EEENS1_30default_config_static_selectorELNS0_4arch9wavefront6targetE0EEEvSF_ ; -- Begin function _ZN7rocprim17ROCPRIM_400000_NS6detail17trampoline_kernelINS0_14default_configENS1_22reduce_config_selectorI18summary_stats_dataIfEEEZNS1_11reduce_implILb1ES3_PS6_S9_S6_23summary_stats_binary_opIfEEE10hipError_tPvRmT1_T2_T3_mT4_P12ihipStream_tbEUlT_E1_NS1_11comp_targetILNS1_3genE8ELNS1_11target_archE1030ELNS1_3gpuE2ELNS1_3repE0EEENS1_30default_config_static_selectorELNS0_4arch9wavefront6targetE0EEEvSF_
	.globl	_ZN7rocprim17ROCPRIM_400000_NS6detail17trampoline_kernelINS0_14default_configENS1_22reduce_config_selectorI18summary_stats_dataIfEEEZNS1_11reduce_implILb1ES3_PS6_S9_S6_23summary_stats_binary_opIfEEE10hipError_tPvRmT1_T2_T3_mT4_P12ihipStream_tbEUlT_E1_NS1_11comp_targetILNS1_3genE8ELNS1_11target_archE1030ELNS1_3gpuE2ELNS1_3repE0EEENS1_30default_config_static_selectorELNS0_4arch9wavefront6targetE0EEEvSF_
	.p2align	8
	.type	_ZN7rocprim17ROCPRIM_400000_NS6detail17trampoline_kernelINS0_14default_configENS1_22reduce_config_selectorI18summary_stats_dataIfEEEZNS1_11reduce_implILb1ES3_PS6_S9_S6_23summary_stats_binary_opIfEEE10hipError_tPvRmT1_T2_T3_mT4_P12ihipStream_tbEUlT_E1_NS1_11comp_targetILNS1_3genE8ELNS1_11target_archE1030ELNS1_3gpuE2ELNS1_3repE0EEENS1_30default_config_static_selectorELNS0_4arch9wavefront6targetE0EEEvSF_,@function
_ZN7rocprim17ROCPRIM_400000_NS6detail17trampoline_kernelINS0_14default_configENS1_22reduce_config_selectorI18summary_stats_dataIfEEEZNS1_11reduce_implILb1ES3_PS6_S9_S6_23summary_stats_binary_opIfEEE10hipError_tPvRmT1_T2_T3_mT4_P12ihipStream_tbEUlT_E1_NS1_11comp_targetILNS1_3genE8ELNS1_11target_archE1030ELNS1_3gpuE2ELNS1_3repE0EEENS1_30default_config_static_selectorELNS0_4arch9wavefront6targetE0EEEvSF_: ; @_ZN7rocprim17ROCPRIM_400000_NS6detail17trampoline_kernelINS0_14default_configENS1_22reduce_config_selectorI18summary_stats_dataIfEEEZNS1_11reduce_implILb1ES3_PS6_S9_S6_23summary_stats_binary_opIfEEE10hipError_tPvRmT1_T2_T3_mT4_P12ihipStream_tbEUlT_E1_NS1_11comp_targetILNS1_3genE8ELNS1_11target_archE1030ELNS1_3gpuE2ELNS1_3repE0EEENS1_30default_config_static_selectorELNS0_4arch9wavefront6targetE0EEEvSF_
; %bb.0:
	.section	.rodata,"a",@progbits
	.p2align	6, 0x0
	.amdhsa_kernel _ZN7rocprim17ROCPRIM_400000_NS6detail17trampoline_kernelINS0_14default_configENS1_22reduce_config_selectorI18summary_stats_dataIfEEEZNS1_11reduce_implILb1ES3_PS6_S9_S6_23summary_stats_binary_opIfEEE10hipError_tPvRmT1_T2_T3_mT4_P12ihipStream_tbEUlT_E1_NS1_11comp_targetILNS1_3genE8ELNS1_11target_archE1030ELNS1_3gpuE2ELNS1_3repE0EEENS1_30default_config_static_selectorELNS0_4arch9wavefront6targetE0EEEvSF_
		.amdhsa_group_segment_fixed_size 0
		.amdhsa_private_segment_fixed_size 0
		.amdhsa_kernarg_size 64
		.amdhsa_user_sgpr_count 15
		.amdhsa_user_sgpr_dispatch_ptr 0
		.amdhsa_user_sgpr_queue_ptr 0
		.amdhsa_user_sgpr_kernarg_segment_ptr 1
		.amdhsa_user_sgpr_dispatch_id 0
		.amdhsa_user_sgpr_private_segment_size 0
		.amdhsa_wavefront_size32 1
		.amdhsa_uses_dynamic_stack 0
		.amdhsa_enable_private_segment 0
		.amdhsa_system_sgpr_workgroup_id_x 1
		.amdhsa_system_sgpr_workgroup_id_y 0
		.amdhsa_system_sgpr_workgroup_id_z 0
		.amdhsa_system_sgpr_workgroup_info 0
		.amdhsa_system_vgpr_workitem_id 0
		.amdhsa_next_free_vgpr 1
		.amdhsa_next_free_sgpr 1
		.amdhsa_reserve_vcc 0
		.amdhsa_float_round_mode_32 0
		.amdhsa_float_round_mode_16_64 0
		.amdhsa_float_denorm_mode_32 3
		.amdhsa_float_denorm_mode_16_64 3
		.amdhsa_dx10_clamp 1
		.amdhsa_ieee_mode 1
		.amdhsa_fp16_overflow 0
		.amdhsa_workgroup_processor_mode 1
		.amdhsa_memory_ordered 1
		.amdhsa_forward_progress 0
		.amdhsa_shared_vgpr_count 0
		.amdhsa_exception_fp_ieee_invalid_op 0
		.amdhsa_exception_fp_denorm_src 0
		.amdhsa_exception_fp_ieee_div_zero 0
		.amdhsa_exception_fp_ieee_overflow 0
		.amdhsa_exception_fp_ieee_underflow 0
		.amdhsa_exception_fp_ieee_inexact 0
		.amdhsa_exception_int_div_zero 0
	.end_amdhsa_kernel
	.section	.text._ZN7rocprim17ROCPRIM_400000_NS6detail17trampoline_kernelINS0_14default_configENS1_22reduce_config_selectorI18summary_stats_dataIfEEEZNS1_11reduce_implILb1ES3_PS6_S9_S6_23summary_stats_binary_opIfEEE10hipError_tPvRmT1_T2_T3_mT4_P12ihipStream_tbEUlT_E1_NS1_11comp_targetILNS1_3genE8ELNS1_11target_archE1030ELNS1_3gpuE2ELNS1_3repE0EEENS1_30default_config_static_selectorELNS0_4arch9wavefront6targetE0EEEvSF_,"axG",@progbits,_ZN7rocprim17ROCPRIM_400000_NS6detail17trampoline_kernelINS0_14default_configENS1_22reduce_config_selectorI18summary_stats_dataIfEEEZNS1_11reduce_implILb1ES3_PS6_S9_S6_23summary_stats_binary_opIfEEE10hipError_tPvRmT1_T2_T3_mT4_P12ihipStream_tbEUlT_E1_NS1_11comp_targetILNS1_3genE8ELNS1_11target_archE1030ELNS1_3gpuE2ELNS1_3repE0EEENS1_30default_config_static_selectorELNS0_4arch9wavefront6targetE0EEEvSF_,comdat
.Lfunc_end17:
	.size	_ZN7rocprim17ROCPRIM_400000_NS6detail17trampoline_kernelINS0_14default_configENS1_22reduce_config_selectorI18summary_stats_dataIfEEEZNS1_11reduce_implILb1ES3_PS6_S9_S6_23summary_stats_binary_opIfEEE10hipError_tPvRmT1_T2_T3_mT4_P12ihipStream_tbEUlT_E1_NS1_11comp_targetILNS1_3genE8ELNS1_11target_archE1030ELNS1_3gpuE2ELNS1_3repE0EEENS1_30default_config_static_selectorELNS0_4arch9wavefront6targetE0EEEvSF_, .Lfunc_end17-_ZN7rocprim17ROCPRIM_400000_NS6detail17trampoline_kernelINS0_14default_configENS1_22reduce_config_selectorI18summary_stats_dataIfEEEZNS1_11reduce_implILb1ES3_PS6_S9_S6_23summary_stats_binary_opIfEEE10hipError_tPvRmT1_T2_T3_mT4_P12ihipStream_tbEUlT_E1_NS1_11comp_targetILNS1_3genE8ELNS1_11target_archE1030ELNS1_3gpuE2ELNS1_3repE0EEENS1_30default_config_static_selectorELNS0_4arch9wavefront6targetE0EEEvSF_
                                        ; -- End function
	.section	.AMDGPU.csdata,"",@progbits
; Kernel info:
; codeLenInByte = 0
; NumSgprs: 0
; NumVgprs: 0
; ScratchSize: 0
; MemoryBound: 0
; FloatMode: 240
; IeeeMode: 1
; LDSByteSize: 0 bytes/workgroup (compile time only)
; SGPRBlocks: 0
; VGPRBlocks: 0
; NumSGPRsForWavesPerEU: 1
; NumVGPRsForWavesPerEU: 1
; Occupancy: 16
; WaveLimiterHint : 0
; COMPUTE_PGM_RSRC2:SCRATCH_EN: 0
; COMPUTE_PGM_RSRC2:USER_SGPR: 15
; COMPUTE_PGM_RSRC2:TRAP_HANDLER: 0
; COMPUTE_PGM_RSRC2:TGID_X_EN: 1
; COMPUTE_PGM_RSRC2:TGID_Y_EN: 0
; COMPUTE_PGM_RSRC2:TGID_Z_EN: 0
; COMPUTE_PGM_RSRC2:TIDIG_COMP_CNT: 0
	.section	.text._ZN7rocprim17ROCPRIM_400000_NS6detail17trampoline_kernelINS0_14default_configENS1_22reduce_config_selectorI18summary_stats_dataIfEEEZNS1_11reduce_implILb1ES3_N6thrust23THRUST_200600_302600_NS11hip_rocprim26transform_input_iterator_tIS6_NSA_6detail15normal_iteratorINSA_10device_ptrIfEEEE22summary_stats_unary_opIfEEEPS6_S6_23summary_stats_binary_opIfEEE10hipError_tPvRmT1_T2_T3_mT4_P12ihipStream_tbEUlT_E0_NS1_11comp_targetILNS1_3genE0ELNS1_11target_archE4294967295ELNS1_3gpuE0ELNS1_3repE0EEENS1_30default_config_static_selectorELNS0_4arch9wavefront6targetE0EEEvSR_,"axG",@progbits,_ZN7rocprim17ROCPRIM_400000_NS6detail17trampoline_kernelINS0_14default_configENS1_22reduce_config_selectorI18summary_stats_dataIfEEEZNS1_11reduce_implILb1ES3_N6thrust23THRUST_200600_302600_NS11hip_rocprim26transform_input_iterator_tIS6_NSA_6detail15normal_iteratorINSA_10device_ptrIfEEEE22summary_stats_unary_opIfEEEPS6_S6_23summary_stats_binary_opIfEEE10hipError_tPvRmT1_T2_T3_mT4_P12ihipStream_tbEUlT_E0_NS1_11comp_targetILNS1_3genE0ELNS1_11target_archE4294967295ELNS1_3gpuE0ELNS1_3repE0EEENS1_30default_config_static_selectorELNS0_4arch9wavefront6targetE0EEEvSR_,comdat
	.protected	_ZN7rocprim17ROCPRIM_400000_NS6detail17trampoline_kernelINS0_14default_configENS1_22reduce_config_selectorI18summary_stats_dataIfEEEZNS1_11reduce_implILb1ES3_N6thrust23THRUST_200600_302600_NS11hip_rocprim26transform_input_iterator_tIS6_NSA_6detail15normal_iteratorINSA_10device_ptrIfEEEE22summary_stats_unary_opIfEEEPS6_S6_23summary_stats_binary_opIfEEE10hipError_tPvRmT1_T2_T3_mT4_P12ihipStream_tbEUlT_E0_NS1_11comp_targetILNS1_3genE0ELNS1_11target_archE4294967295ELNS1_3gpuE0ELNS1_3repE0EEENS1_30default_config_static_selectorELNS0_4arch9wavefront6targetE0EEEvSR_ ; -- Begin function _ZN7rocprim17ROCPRIM_400000_NS6detail17trampoline_kernelINS0_14default_configENS1_22reduce_config_selectorI18summary_stats_dataIfEEEZNS1_11reduce_implILb1ES3_N6thrust23THRUST_200600_302600_NS11hip_rocprim26transform_input_iterator_tIS6_NSA_6detail15normal_iteratorINSA_10device_ptrIfEEEE22summary_stats_unary_opIfEEEPS6_S6_23summary_stats_binary_opIfEEE10hipError_tPvRmT1_T2_T3_mT4_P12ihipStream_tbEUlT_E0_NS1_11comp_targetILNS1_3genE0ELNS1_11target_archE4294967295ELNS1_3gpuE0ELNS1_3repE0EEENS1_30default_config_static_selectorELNS0_4arch9wavefront6targetE0EEEvSR_
	.globl	_ZN7rocprim17ROCPRIM_400000_NS6detail17trampoline_kernelINS0_14default_configENS1_22reduce_config_selectorI18summary_stats_dataIfEEEZNS1_11reduce_implILb1ES3_N6thrust23THRUST_200600_302600_NS11hip_rocprim26transform_input_iterator_tIS6_NSA_6detail15normal_iteratorINSA_10device_ptrIfEEEE22summary_stats_unary_opIfEEEPS6_S6_23summary_stats_binary_opIfEEE10hipError_tPvRmT1_T2_T3_mT4_P12ihipStream_tbEUlT_E0_NS1_11comp_targetILNS1_3genE0ELNS1_11target_archE4294967295ELNS1_3gpuE0ELNS1_3repE0EEENS1_30default_config_static_selectorELNS0_4arch9wavefront6targetE0EEEvSR_
	.p2align	8
	.type	_ZN7rocprim17ROCPRIM_400000_NS6detail17trampoline_kernelINS0_14default_configENS1_22reduce_config_selectorI18summary_stats_dataIfEEEZNS1_11reduce_implILb1ES3_N6thrust23THRUST_200600_302600_NS11hip_rocprim26transform_input_iterator_tIS6_NSA_6detail15normal_iteratorINSA_10device_ptrIfEEEE22summary_stats_unary_opIfEEEPS6_S6_23summary_stats_binary_opIfEEE10hipError_tPvRmT1_T2_T3_mT4_P12ihipStream_tbEUlT_E0_NS1_11comp_targetILNS1_3genE0ELNS1_11target_archE4294967295ELNS1_3gpuE0ELNS1_3repE0EEENS1_30default_config_static_selectorELNS0_4arch9wavefront6targetE0EEEvSR_,@function
_ZN7rocprim17ROCPRIM_400000_NS6detail17trampoline_kernelINS0_14default_configENS1_22reduce_config_selectorI18summary_stats_dataIfEEEZNS1_11reduce_implILb1ES3_N6thrust23THRUST_200600_302600_NS11hip_rocprim26transform_input_iterator_tIS6_NSA_6detail15normal_iteratorINSA_10device_ptrIfEEEE22summary_stats_unary_opIfEEEPS6_S6_23summary_stats_binary_opIfEEE10hipError_tPvRmT1_T2_T3_mT4_P12ihipStream_tbEUlT_E0_NS1_11comp_targetILNS1_3genE0ELNS1_11target_archE4294967295ELNS1_3gpuE0ELNS1_3repE0EEENS1_30default_config_static_selectorELNS0_4arch9wavefront6targetE0EEEvSR_: ; @_ZN7rocprim17ROCPRIM_400000_NS6detail17trampoline_kernelINS0_14default_configENS1_22reduce_config_selectorI18summary_stats_dataIfEEEZNS1_11reduce_implILb1ES3_N6thrust23THRUST_200600_302600_NS11hip_rocprim26transform_input_iterator_tIS6_NSA_6detail15normal_iteratorINSA_10device_ptrIfEEEE22summary_stats_unary_opIfEEEPS6_S6_23summary_stats_binary_opIfEEE10hipError_tPvRmT1_T2_T3_mT4_P12ihipStream_tbEUlT_E0_NS1_11comp_targetILNS1_3genE0ELNS1_11target_archE4294967295ELNS1_3gpuE0ELNS1_3repE0EEENS1_30default_config_static_selectorELNS0_4arch9wavefront6targetE0EEEvSR_
; %bb.0:
	.section	.rodata,"a",@progbits
	.p2align	6, 0x0
	.amdhsa_kernel _ZN7rocprim17ROCPRIM_400000_NS6detail17trampoline_kernelINS0_14default_configENS1_22reduce_config_selectorI18summary_stats_dataIfEEEZNS1_11reduce_implILb1ES3_N6thrust23THRUST_200600_302600_NS11hip_rocprim26transform_input_iterator_tIS6_NSA_6detail15normal_iteratorINSA_10device_ptrIfEEEE22summary_stats_unary_opIfEEEPS6_S6_23summary_stats_binary_opIfEEE10hipError_tPvRmT1_T2_T3_mT4_P12ihipStream_tbEUlT_E0_NS1_11comp_targetILNS1_3genE0ELNS1_11target_archE4294967295ELNS1_3gpuE0ELNS1_3repE0EEENS1_30default_config_static_selectorELNS0_4arch9wavefront6targetE0EEEvSR_
		.amdhsa_group_segment_fixed_size 0
		.amdhsa_private_segment_fixed_size 0
		.amdhsa_kernarg_size 88
		.amdhsa_user_sgpr_count 15
		.amdhsa_user_sgpr_dispatch_ptr 0
		.amdhsa_user_sgpr_queue_ptr 0
		.amdhsa_user_sgpr_kernarg_segment_ptr 1
		.amdhsa_user_sgpr_dispatch_id 0
		.amdhsa_user_sgpr_private_segment_size 0
		.amdhsa_wavefront_size32 1
		.amdhsa_uses_dynamic_stack 0
		.amdhsa_enable_private_segment 0
		.amdhsa_system_sgpr_workgroup_id_x 1
		.amdhsa_system_sgpr_workgroup_id_y 0
		.amdhsa_system_sgpr_workgroup_id_z 0
		.amdhsa_system_sgpr_workgroup_info 0
		.amdhsa_system_vgpr_workitem_id 0
		.amdhsa_next_free_vgpr 1
		.amdhsa_next_free_sgpr 1
		.amdhsa_reserve_vcc 0
		.amdhsa_float_round_mode_32 0
		.amdhsa_float_round_mode_16_64 0
		.amdhsa_float_denorm_mode_32 3
		.amdhsa_float_denorm_mode_16_64 3
		.amdhsa_dx10_clamp 1
		.amdhsa_ieee_mode 1
		.amdhsa_fp16_overflow 0
		.amdhsa_workgroup_processor_mode 1
		.amdhsa_memory_ordered 1
		.amdhsa_forward_progress 0
		.amdhsa_shared_vgpr_count 0
		.amdhsa_exception_fp_ieee_invalid_op 0
		.amdhsa_exception_fp_denorm_src 0
		.amdhsa_exception_fp_ieee_div_zero 0
		.amdhsa_exception_fp_ieee_overflow 0
		.amdhsa_exception_fp_ieee_underflow 0
		.amdhsa_exception_fp_ieee_inexact 0
		.amdhsa_exception_int_div_zero 0
	.end_amdhsa_kernel
	.section	.text._ZN7rocprim17ROCPRIM_400000_NS6detail17trampoline_kernelINS0_14default_configENS1_22reduce_config_selectorI18summary_stats_dataIfEEEZNS1_11reduce_implILb1ES3_N6thrust23THRUST_200600_302600_NS11hip_rocprim26transform_input_iterator_tIS6_NSA_6detail15normal_iteratorINSA_10device_ptrIfEEEE22summary_stats_unary_opIfEEEPS6_S6_23summary_stats_binary_opIfEEE10hipError_tPvRmT1_T2_T3_mT4_P12ihipStream_tbEUlT_E0_NS1_11comp_targetILNS1_3genE0ELNS1_11target_archE4294967295ELNS1_3gpuE0ELNS1_3repE0EEENS1_30default_config_static_selectorELNS0_4arch9wavefront6targetE0EEEvSR_,"axG",@progbits,_ZN7rocprim17ROCPRIM_400000_NS6detail17trampoline_kernelINS0_14default_configENS1_22reduce_config_selectorI18summary_stats_dataIfEEEZNS1_11reduce_implILb1ES3_N6thrust23THRUST_200600_302600_NS11hip_rocprim26transform_input_iterator_tIS6_NSA_6detail15normal_iteratorINSA_10device_ptrIfEEEE22summary_stats_unary_opIfEEEPS6_S6_23summary_stats_binary_opIfEEE10hipError_tPvRmT1_T2_T3_mT4_P12ihipStream_tbEUlT_E0_NS1_11comp_targetILNS1_3genE0ELNS1_11target_archE4294967295ELNS1_3gpuE0ELNS1_3repE0EEENS1_30default_config_static_selectorELNS0_4arch9wavefront6targetE0EEEvSR_,comdat
.Lfunc_end18:
	.size	_ZN7rocprim17ROCPRIM_400000_NS6detail17trampoline_kernelINS0_14default_configENS1_22reduce_config_selectorI18summary_stats_dataIfEEEZNS1_11reduce_implILb1ES3_N6thrust23THRUST_200600_302600_NS11hip_rocprim26transform_input_iterator_tIS6_NSA_6detail15normal_iteratorINSA_10device_ptrIfEEEE22summary_stats_unary_opIfEEEPS6_S6_23summary_stats_binary_opIfEEE10hipError_tPvRmT1_T2_T3_mT4_P12ihipStream_tbEUlT_E0_NS1_11comp_targetILNS1_3genE0ELNS1_11target_archE4294967295ELNS1_3gpuE0ELNS1_3repE0EEENS1_30default_config_static_selectorELNS0_4arch9wavefront6targetE0EEEvSR_, .Lfunc_end18-_ZN7rocprim17ROCPRIM_400000_NS6detail17trampoline_kernelINS0_14default_configENS1_22reduce_config_selectorI18summary_stats_dataIfEEEZNS1_11reduce_implILb1ES3_N6thrust23THRUST_200600_302600_NS11hip_rocprim26transform_input_iterator_tIS6_NSA_6detail15normal_iteratorINSA_10device_ptrIfEEEE22summary_stats_unary_opIfEEEPS6_S6_23summary_stats_binary_opIfEEE10hipError_tPvRmT1_T2_T3_mT4_P12ihipStream_tbEUlT_E0_NS1_11comp_targetILNS1_3genE0ELNS1_11target_archE4294967295ELNS1_3gpuE0ELNS1_3repE0EEENS1_30default_config_static_selectorELNS0_4arch9wavefront6targetE0EEEvSR_
                                        ; -- End function
	.section	.AMDGPU.csdata,"",@progbits
; Kernel info:
; codeLenInByte = 0
; NumSgprs: 0
; NumVgprs: 0
; ScratchSize: 0
; MemoryBound: 0
; FloatMode: 240
; IeeeMode: 1
; LDSByteSize: 0 bytes/workgroup (compile time only)
; SGPRBlocks: 0
; VGPRBlocks: 0
; NumSGPRsForWavesPerEU: 1
; NumVGPRsForWavesPerEU: 1
; Occupancy: 16
; WaveLimiterHint : 0
; COMPUTE_PGM_RSRC2:SCRATCH_EN: 0
; COMPUTE_PGM_RSRC2:USER_SGPR: 15
; COMPUTE_PGM_RSRC2:TRAP_HANDLER: 0
; COMPUTE_PGM_RSRC2:TGID_X_EN: 1
; COMPUTE_PGM_RSRC2:TGID_Y_EN: 0
; COMPUTE_PGM_RSRC2:TGID_Z_EN: 0
; COMPUTE_PGM_RSRC2:TIDIG_COMP_CNT: 0
	.section	.text._ZN7rocprim17ROCPRIM_400000_NS6detail17trampoline_kernelINS0_14default_configENS1_22reduce_config_selectorI18summary_stats_dataIfEEEZNS1_11reduce_implILb1ES3_N6thrust23THRUST_200600_302600_NS11hip_rocprim26transform_input_iterator_tIS6_NSA_6detail15normal_iteratorINSA_10device_ptrIfEEEE22summary_stats_unary_opIfEEEPS6_S6_23summary_stats_binary_opIfEEE10hipError_tPvRmT1_T2_T3_mT4_P12ihipStream_tbEUlT_E0_NS1_11comp_targetILNS1_3genE5ELNS1_11target_archE942ELNS1_3gpuE9ELNS1_3repE0EEENS1_30default_config_static_selectorELNS0_4arch9wavefront6targetE0EEEvSR_,"axG",@progbits,_ZN7rocprim17ROCPRIM_400000_NS6detail17trampoline_kernelINS0_14default_configENS1_22reduce_config_selectorI18summary_stats_dataIfEEEZNS1_11reduce_implILb1ES3_N6thrust23THRUST_200600_302600_NS11hip_rocprim26transform_input_iterator_tIS6_NSA_6detail15normal_iteratorINSA_10device_ptrIfEEEE22summary_stats_unary_opIfEEEPS6_S6_23summary_stats_binary_opIfEEE10hipError_tPvRmT1_T2_T3_mT4_P12ihipStream_tbEUlT_E0_NS1_11comp_targetILNS1_3genE5ELNS1_11target_archE942ELNS1_3gpuE9ELNS1_3repE0EEENS1_30default_config_static_selectorELNS0_4arch9wavefront6targetE0EEEvSR_,comdat
	.protected	_ZN7rocprim17ROCPRIM_400000_NS6detail17trampoline_kernelINS0_14default_configENS1_22reduce_config_selectorI18summary_stats_dataIfEEEZNS1_11reduce_implILb1ES3_N6thrust23THRUST_200600_302600_NS11hip_rocprim26transform_input_iterator_tIS6_NSA_6detail15normal_iteratorINSA_10device_ptrIfEEEE22summary_stats_unary_opIfEEEPS6_S6_23summary_stats_binary_opIfEEE10hipError_tPvRmT1_T2_T3_mT4_P12ihipStream_tbEUlT_E0_NS1_11comp_targetILNS1_3genE5ELNS1_11target_archE942ELNS1_3gpuE9ELNS1_3repE0EEENS1_30default_config_static_selectorELNS0_4arch9wavefront6targetE0EEEvSR_ ; -- Begin function _ZN7rocprim17ROCPRIM_400000_NS6detail17trampoline_kernelINS0_14default_configENS1_22reduce_config_selectorI18summary_stats_dataIfEEEZNS1_11reduce_implILb1ES3_N6thrust23THRUST_200600_302600_NS11hip_rocprim26transform_input_iterator_tIS6_NSA_6detail15normal_iteratorINSA_10device_ptrIfEEEE22summary_stats_unary_opIfEEEPS6_S6_23summary_stats_binary_opIfEEE10hipError_tPvRmT1_T2_T3_mT4_P12ihipStream_tbEUlT_E0_NS1_11comp_targetILNS1_3genE5ELNS1_11target_archE942ELNS1_3gpuE9ELNS1_3repE0EEENS1_30default_config_static_selectorELNS0_4arch9wavefront6targetE0EEEvSR_
	.globl	_ZN7rocprim17ROCPRIM_400000_NS6detail17trampoline_kernelINS0_14default_configENS1_22reduce_config_selectorI18summary_stats_dataIfEEEZNS1_11reduce_implILb1ES3_N6thrust23THRUST_200600_302600_NS11hip_rocprim26transform_input_iterator_tIS6_NSA_6detail15normal_iteratorINSA_10device_ptrIfEEEE22summary_stats_unary_opIfEEEPS6_S6_23summary_stats_binary_opIfEEE10hipError_tPvRmT1_T2_T3_mT4_P12ihipStream_tbEUlT_E0_NS1_11comp_targetILNS1_3genE5ELNS1_11target_archE942ELNS1_3gpuE9ELNS1_3repE0EEENS1_30default_config_static_selectorELNS0_4arch9wavefront6targetE0EEEvSR_
	.p2align	8
	.type	_ZN7rocprim17ROCPRIM_400000_NS6detail17trampoline_kernelINS0_14default_configENS1_22reduce_config_selectorI18summary_stats_dataIfEEEZNS1_11reduce_implILb1ES3_N6thrust23THRUST_200600_302600_NS11hip_rocprim26transform_input_iterator_tIS6_NSA_6detail15normal_iteratorINSA_10device_ptrIfEEEE22summary_stats_unary_opIfEEEPS6_S6_23summary_stats_binary_opIfEEE10hipError_tPvRmT1_T2_T3_mT4_P12ihipStream_tbEUlT_E0_NS1_11comp_targetILNS1_3genE5ELNS1_11target_archE942ELNS1_3gpuE9ELNS1_3repE0EEENS1_30default_config_static_selectorELNS0_4arch9wavefront6targetE0EEEvSR_,@function
_ZN7rocprim17ROCPRIM_400000_NS6detail17trampoline_kernelINS0_14default_configENS1_22reduce_config_selectorI18summary_stats_dataIfEEEZNS1_11reduce_implILb1ES3_N6thrust23THRUST_200600_302600_NS11hip_rocprim26transform_input_iterator_tIS6_NSA_6detail15normal_iteratorINSA_10device_ptrIfEEEE22summary_stats_unary_opIfEEEPS6_S6_23summary_stats_binary_opIfEEE10hipError_tPvRmT1_T2_T3_mT4_P12ihipStream_tbEUlT_E0_NS1_11comp_targetILNS1_3genE5ELNS1_11target_archE942ELNS1_3gpuE9ELNS1_3repE0EEENS1_30default_config_static_selectorELNS0_4arch9wavefront6targetE0EEEvSR_: ; @_ZN7rocprim17ROCPRIM_400000_NS6detail17trampoline_kernelINS0_14default_configENS1_22reduce_config_selectorI18summary_stats_dataIfEEEZNS1_11reduce_implILb1ES3_N6thrust23THRUST_200600_302600_NS11hip_rocprim26transform_input_iterator_tIS6_NSA_6detail15normal_iteratorINSA_10device_ptrIfEEEE22summary_stats_unary_opIfEEEPS6_S6_23summary_stats_binary_opIfEEE10hipError_tPvRmT1_T2_T3_mT4_P12ihipStream_tbEUlT_E0_NS1_11comp_targetILNS1_3genE5ELNS1_11target_archE942ELNS1_3gpuE9ELNS1_3repE0EEENS1_30default_config_static_selectorELNS0_4arch9wavefront6targetE0EEEvSR_
; %bb.0:
	.section	.rodata,"a",@progbits
	.p2align	6, 0x0
	.amdhsa_kernel _ZN7rocprim17ROCPRIM_400000_NS6detail17trampoline_kernelINS0_14default_configENS1_22reduce_config_selectorI18summary_stats_dataIfEEEZNS1_11reduce_implILb1ES3_N6thrust23THRUST_200600_302600_NS11hip_rocprim26transform_input_iterator_tIS6_NSA_6detail15normal_iteratorINSA_10device_ptrIfEEEE22summary_stats_unary_opIfEEEPS6_S6_23summary_stats_binary_opIfEEE10hipError_tPvRmT1_T2_T3_mT4_P12ihipStream_tbEUlT_E0_NS1_11comp_targetILNS1_3genE5ELNS1_11target_archE942ELNS1_3gpuE9ELNS1_3repE0EEENS1_30default_config_static_selectorELNS0_4arch9wavefront6targetE0EEEvSR_
		.amdhsa_group_segment_fixed_size 0
		.amdhsa_private_segment_fixed_size 0
		.amdhsa_kernarg_size 88
		.amdhsa_user_sgpr_count 15
		.amdhsa_user_sgpr_dispatch_ptr 0
		.amdhsa_user_sgpr_queue_ptr 0
		.amdhsa_user_sgpr_kernarg_segment_ptr 1
		.amdhsa_user_sgpr_dispatch_id 0
		.amdhsa_user_sgpr_private_segment_size 0
		.amdhsa_wavefront_size32 1
		.amdhsa_uses_dynamic_stack 0
		.amdhsa_enable_private_segment 0
		.amdhsa_system_sgpr_workgroup_id_x 1
		.amdhsa_system_sgpr_workgroup_id_y 0
		.amdhsa_system_sgpr_workgroup_id_z 0
		.amdhsa_system_sgpr_workgroup_info 0
		.amdhsa_system_vgpr_workitem_id 0
		.amdhsa_next_free_vgpr 1
		.amdhsa_next_free_sgpr 1
		.amdhsa_reserve_vcc 0
		.amdhsa_float_round_mode_32 0
		.amdhsa_float_round_mode_16_64 0
		.amdhsa_float_denorm_mode_32 3
		.amdhsa_float_denorm_mode_16_64 3
		.amdhsa_dx10_clamp 1
		.amdhsa_ieee_mode 1
		.amdhsa_fp16_overflow 0
		.amdhsa_workgroup_processor_mode 1
		.amdhsa_memory_ordered 1
		.amdhsa_forward_progress 0
		.amdhsa_shared_vgpr_count 0
		.amdhsa_exception_fp_ieee_invalid_op 0
		.amdhsa_exception_fp_denorm_src 0
		.amdhsa_exception_fp_ieee_div_zero 0
		.amdhsa_exception_fp_ieee_overflow 0
		.amdhsa_exception_fp_ieee_underflow 0
		.amdhsa_exception_fp_ieee_inexact 0
		.amdhsa_exception_int_div_zero 0
	.end_amdhsa_kernel
	.section	.text._ZN7rocprim17ROCPRIM_400000_NS6detail17trampoline_kernelINS0_14default_configENS1_22reduce_config_selectorI18summary_stats_dataIfEEEZNS1_11reduce_implILb1ES3_N6thrust23THRUST_200600_302600_NS11hip_rocprim26transform_input_iterator_tIS6_NSA_6detail15normal_iteratorINSA_10device_ptrIfEEEE22summary_stats_unary_opIfEEEPS6_S6_23summary_stats_binary_opIfEEE10hipError_tPvRmT1_T2_T3_mT4_P12ihipStream_tbEUlT_E0_NS1_11comp_targetILNS1_3genE5ELNS1_11target_archE942ELNS1_3gpuE9ELNS1_3repE0EEENS1_30default_config_static_selectorELNS0_4arch9wavefront6targetE0EEEvSR_,"axG",@progbits,_ZN7rocprim17ROCPRIM_400000_NS6detail17trampoline_kernelINS0_14default_configENS1_22reduce_config_selectorI18summary_stats_dataIfEEEZNS1_11reduce_implILb1ES3_N6thrust23THRUST_200600_302600_NS11hip_rocprim26transform_input_iterator_tIS6_NSA_6detail15normal_iteratorINSA_10device_ptrIfEEEE22summary_stats_unary_opIfEEEPS6_S6_23summary_stats_binary_opIfEEE10hipError_tPvRmT1_T2_T3_mT4_P12ihipStream_tbEUlT_E0_NS1_11comp_targetILNS1_3genE5ELNS1_11target_archE942ELNS1_3gpuE9ELNS1_3repE0EEENS1_30default_config_static_selectorELNS0_4arch9wavefront6targetE0EEEvSR_,comdat
.Lfunc_end19:
	.size	_ZN7rocprim17ROCPRIM_400000_NS6detail17trampoline_kernelINS0_14default_configENS1_22reduce_config_selectorI18summary_stats_dataIfEEEZNS1_11reduce_implILb1ES3_N6thrust23THRUST_200600_302600_NS11hip_rocprim26transform_input_iterator_tIS6_NSA_6detail15normal_iteratorINSA_10device_ptrIfEEEE22summary_stats_unary_opIfEEEPS6_S6_23summary_stats_binary_opIfEEE10hipError_tPvRmT1_T2_T3_mT4_P12ihipStream_tbEUlT_E0_NS1_11comp_targetILNS1_3genE5ELNS1_11target_archE942ELNS1_3gpuE9ELNS1_3repE0EEENS1_30default_config_static_selectorELNS0_4arch9wavefront6targetE0EEEvSR_, .Lfunc_end19-_ZN7rocprim17ROCPRIM_400000_NS6detail17trampoline_kernelINS0_14default_configENS1_22reduce_config_selectorI18summary_stats_dataIfEEEZNS1_11reduce_implILb1ES3_N6thrust23THRUST_200600_302600_NS11hip_rocprim26transform_input_iterator_tIS6_NSA_6detail15normal_iteratorINSA_10device_ptrIfEEEE22summary_stats_unary_opIfEEEPS6_S6_23summary_stats_binary_opIfEEE10hipError_tPvRmT1_T2_T3_mT4_P12ihipStream_tbEUlT_E0_NS1_11comp_targetILNS1_3genE5ELNS1_11target_archE942ELNS1_3gpuE9ELNS1_3repE0EEENS1_30default_config_static_selectorELNS0_4arch9wavefront6targetE0EEEvSR_
                                        ; -- End function
	.section	.AMDGPU.csdata,"",@progbits
; Kernel info:
; codeLenInByte = 0
; NumSgprs: 0
; NumVgprs: 0
; ScratchSize: 0
; MemoryBound: 0
; FloatMode: 240
; IeeeMode: 1
; LDSByteSize: 0 bytes/workgroup (compile time only)
; SGPRBlocks: 0
; VGPRBlocks: 0
; NumSGPRsForWavesPerEU: 1
; NumVGPRsForWavesPerEU: 1
; Occupancy: 16
; WaveLimiterHint : 0
; COMPUTE_PGM_RSRC2:SCRATCH_EN: 0
; COMPUTE_PGM_RSRC2:USER_SGPR: 15
; COMPUTE_PGM_RSRC2:TRAP_HANDLER: 0
; COMPUTE_PGM_RSRC2:TGID_X_EN: 1
; COMPUTE_PGM_RSRC2:TGID_Y_EN: 0
; COMPUTE_PGM_RSRC2:TGID_Z_EN: 0
; COMPUTE_PGM_RSRC2:TIDIG_COMP_CNT: 0
	.section	.text._ZN7rocprim17ROCPRIM_400000_NS6detail17trampoline_kernelINS0_14default_configENS1_22reduce_config_selectorI18summary_stats_dataIfEEEZNS1_11reduce_implILb1ES3_N6thrust23THRUST_200600_302600_NS11hip_rocprim26transform_input_iterator_tIS6_NSA_6detail15normal_iteratorINSA_10device_ptrIfEEEE22summary_stats_unary_opIfEEEPS6_S6_23summary_stats_binary_opIfEEE10hipError_tPvRmT1_T2_T3_mT4_P12ihipStream_tbEUlT_E0_NS1_11comp_targetILNS1_3genE4ELNS1_11target_archE910ELNS1_3gpuE8ELNS1_3repE0EEENS1_30default_config_static_selectorELNS0_4arch9wavefront6targetE0EEEvSR_,"axG",@progbits,_ZN7rocprim17ROCPRIM_400000_NS6detail17trampoline_kernelINS0_14default_configENS1_22reduce_config_selectorI18summary_stats_dataIfEEEZNS1_11reduce_implILb1ES3_N6thrust23THRUST_200600_302600_NS11hip_rocprim26transform_input_iterator_tIS6_NSA_6detail15normal_iteratorINSA_10device_ptrIfEEEE22summary_stats_unary_opIfEEEPS6_S6_23summary_stats_binary_opIfEEE10hipError_tPvRmT1_T2_T3_mT4_P12ihipStream_tbEUlT_E0_NS1_11comp_targetILNS1_3genE4ELNS1_11target_archE910ELNS1_3gpuE8ELNS1_3repE0EEENS1_30default_config_static_selectorELNS0_4arch9wavefront6targetE0EEEvSR_,comdat
	.protected	_ZN7rocprim17ROCPRIM_400000_NS6detail17trampoline_kernelINS0_14default_configENS1_22reduce_config_selectorI18summary_stats_dataIfEEEZNS1_11reduce_implILb1ES3_N6thrust23THRUST_200600_302600_NS11hip_rocprim26transform_input_iterator_tIS6_NSA_6detail15normal_iteratorINSA_10device_ptrIfEEEE22summary_stats_unary_opIfEEEPS6_S6_23summary_stats_binary_opIfEEE10hipError_tPvRmT1_T2_T3_mT4_P12ihipStream_tbEUlT_E0_NS1_11comp_targetILNS1_3genE4ELNS1_11target_archE910ELNS1_3gpuE8ELNS1_3repE0EEENS1_30default_config_static_selectorELNS0_4arch9wavefront6targetE0EEEvSR_ ; -- Begin function _ZN7rocprim17ROCPRIM_400000_NS6detail17trampoline_kernelINS0_14default_configENS1_22reduce_config_selectorI18summary_stats_dataIfEEEZNS1_11reduce_implILb1ES3_N6thrust23THRUST_200600_302600_NS11hip_rocprim26transform_input_iterator_tIS6_NSA_6detail15normal_iteratorINSA_10device_ptrIfEEEE22summary_stats_unary_opIfEEEPS6_S6_23summary_stats_binary_opIfEEE10hipError_tPvRmT1_T2_T3_mT4_P12ihipStream_tbEUlT_E0_NS1_11comp_targetILNS1_3genE4ELNS1_11target_archE910ELNS1_3gpuE8ELNS1_3repE0EEENS1_30default_config_static_selectorELNS0_4arch9wavefront6targetE0EEEvSR_
	.globl	_ZN7rocprim17ROCPRIM_400000_NS6detail17trampoline_kernelINS0_14default_configENS1_22reduce_config_selectorI18summary_stats_dataIfEEEZNS1_11reduce_implILb1ES3_N6thrust23THRUST_200600_302600_NS11hip_rocprim26transform_input_iterator_tIS6_NSA_6detail15normal_iteratorINSA_10device_ptrIfEEEE22summary_stats_unary_opIfEEEPS6_S6_23summary_stats_binary_opIfEEE10hipError_tPvRmT1_T2_T3_mT4_P12ihipStream_tbEUlT_E0_NS1_11comp_targetILNS1_3genE4ELNS1_11target_archE910ELNS1_3gpuE8ELNS1_3repE0EEENS1_30default_config_static_selectorELNS0_4arch9wavefront6targetE0EEEvSR_
	.p2align	8
	.type	_ZN7rocprim17ROCPRIM_400000_NS6detail17trampoline_kernelINS0_14default_configENS1_22reduce_config_selectorI18summary_stats_dataIfEEEZNS1_11reduce_implILb1ES3_N6thrust23THRUST_200600_302600_NS11hip_rocprim26transform_input_iterator_tIS6_NSA_6detail15normal_iteratorINSA_10device_ptrIfEEEE22summary_stats_unary_opIfEEEPS6_S6_23summary_stats_binary_opIfEEE10hipError_tPvRmT1_T2_T3_mT4_P12ihipStream_tbEUlT_E0_NS1_11comp_targetILNS1_3genE4ELNS1_11target_archE910ELNS1_3gpuE8ELNS1_3repE0EEENS1_30default_config_static_selectorELNS0_4arch9wavefront6targetE0EEEvSR_,@function
_ZN7rocprim17ROCPRIM_400000_NS6detail17trampoline_kernelINS0_14default_configENS1_22reduce_config_selectorI18summary_stats_dataIfEEEZNS1_11reduce_implILb1ES3_N6thrust23THRUST_200600_302600_NS11hip_rocprim26transform_input_iterator_tIS6_NSA_6detail15normal_iteratorINSA_10device_ptrIfEEEE22summary_stats_unary_opIfEEEPS6_S6_23summary_stats_binary_opIfEEE10hipError_tPvRmT1_T2_T3_mT4_P12ihipStream_tbEUlT_E0_NS1_11comp_targetILNS1_3genE4ELNS1_11target_archE910ELNS1_3gpuE8ELNS1_3repE0EEENS1_30default_config_static_selectorELNS0_4arch9wavefront6targetE0EEEvSR_: ; @_ZN7rocprim17ROCPRIM_400000_NS6detail17trampoline_kernelINS0_14default_configENS1_22reduce_config_selectorI18summary_stats_dataIfEEEZNS1_11reduce_implILb1ES3_N6thrust23THRUST_200600_302600_NS11hip_rocprim26transform_input_iterator_tIS6_NSA_6detail15normal_iteratorINSA_10device_ptrIfEEEE22summary_stats_unary_opIfEEEPS6_S6_23summary_stats_binary_opIfEEE10hipError_tPvRmT1_T2_T3_mT4_P12ihipStream_tbEUlT_E0_NS1_11comp_targetILNS1_3genE4ELNS1_11target_archE910ELNS1_3gpuE8ELNS1_3repE0EEENS1_30default_config_static_selectorELNS0_4arch9wavefront6targetE0EEEvSR_
; %bb.0:
	.section	.rodata,"a",@progbits
	.p2align	6, 0x0
	.amdhsa_kernel _ZN7rocprim17ROCPRIM_400000_NS6detail17trampoline_kernelINS0_14default_configENS1_22reduce_config_selectorI18summary_stats_dataIfEEEZNS1_11reduce_implILb1ES3_N6thrust23THRUST_200600_302600_NS11hip_rocprim26transform_input_iterator_tIS6_NSA_6detail15normal_iteratorINSA_10device_ptrIfEEEE22summary_stats_unary_opIfEEEPS6_S6_23summary_stats_binary_opIfEEE10hipError_tPvRmT1_T2_T3_mT4_P12ihipStream_tbEUlT_E0_NS1_11comp_targetILNS1_3genE4ELNS1_11target_archE910ELNS1_3gpuE8ELNS1_3repE0EEENS1_30default_config_static_selectorELNS0_4arch9wavefront6targetE0EEEvSR_
		.amdhsa_group_segment_fixed_size 0
		.amdhsa_private_segment_fixed_size 0
		.amdhsa_kernarg_size 88
		.amdhsa_user_sgpr_count 15
		.amdhsa_user_sgpr_dispatch_ptr 0
		.amdhsa_user_sgpr_queue_ptr 0
		.amdhsa_user_sgpr_kernarg_segment_ptr 1
		.amdhsa_user_sgpr_dispatch_id 0
		.amdhsa_user_sgpr_private_segment_size 0
		.amdhsa_wavefront_size32 1
		.amdhsa_uses_dynamic_stack 0
		.amdhsa_enable_private_segment 0
		.amdhsa_system_sgpr_workgroup_id_x 1
		.amdhsa_system_sgpr_workgroup_id_y 0
		.amdhsa_system_sgpr_workgroup_id_z 0
		.amdhsa_system_sgpr_workgroup_info 0
		.amdhsa_system_vgpr_workitem_id 0
		.amdhsa_next_free_vgpr 1
		.amdhsa_next_free_sgpr 1
		.amdhsa_reserve_vcc 0
		.amdhsa_float_round_mode_32 0
		.amdhsa_float_round_mode_16_64 0
		.amdhsa_float_denorm_mode_32 3
		.amdhsa_float_denorm_mode_16_64 3
		.amdhsa_dx10_clamp 1
		.amdhsa_ieee_mode 1
		.amdhsa_fp16_overflow 0
		.amdhsa_workgroup_processor_mode 1
		.amdhsa_memory_ordered 1
		.amdhsa_forward_progress 0
		.amdhsa_shared_vgpr_count 0
		.amdhsa_exception_fp_ieee_invalid_op 0
		.amdhsa_exception_fp_denorm_src 0
		.amdhsa_exception_fp_ieee_div_zero 0
		.amdhsa_exception_fp_ieee_overflow 0
		.amdhsa_exception_fp_ieee_underflow 0
		.amdhsa_exception_fp_ieee_inexact 0
		.amdhsa_exception_int_div_zero 0
	.end_amdhsa_kernel
	.section	.text._ZN7rocprim17ROCPRIM_400000_NS6detail17trampoline_kernelINS0_14default_configENS1_22reduce_config_selectorI18summary_stats_dataIfEEEZNS1_11reduce_implILb1ES3_N6thrust23THRUST_200600_302600_NS11hip_rocprim26transform_input_iterator_tIS6_NSA_6detail15normal_iteratorINSA_10device_ptrIfEEEE22summary_stats_unary_opIfEEEPS6_S6_23summary_stats_binary_opIfEEE10hipError_tPvRmT1_T2_T3_mT4_P12ihipStream_tbEUlT_E0_NS1_11comp_targetILNS1_3genE4ELNS1_11target_archE910ELNS1_3gpuE8ELNS1_3repE0EEENS1_30default_config_static_selectorELNS0_4arch9wavefront6targetE0EEEvSR_,"axG",@progbits,_ZN7rocprim17ROCPRIM_400000_NS6detail17trampoline_kernelINS0_14default_configENS1_22reduce_config_selectorI18summary_stats_dataIfEEEZNS1_11reduce_implILb1ES3_N6thrust23THRUST_200600_302600_NS11hip_rocprim26transform_input_iterator_tIS6_NSA_6detail15normal_iteratorINSA_10device_ptrIfEEEE22summary_stats_unary_opIfEEEPS6_S6_23summary_stats_binary_opIfEEE10hipError_tPvRmT1_T2_T3_mT4_P12ihipStream_tbEUlT_E0_NS1_11comp_targetILNS1_3genE4ELNS1_11target_archE910ELNS1_3gpuE8ELNS1_3repE0EEENS1_30default_config_static_selectorELNS0_4arch9wavefront6targetE0EEEvSR_,comdat
.Lfunc_end20:
	.size	_ZN7rocprim17ROCPRIM_400000_NS6detail17trampoline_kernelINS0_14default_configENS1_22reduce_config_selectorI18summary_stats_dataIfEEEZNS1_11reduce_implILb1ES3_N6thrust23THRUST_200600_302600_NS11hip_rocprim26transform_input_iterator_tIS6_NSA_6detail15normal_iteratorINSA_10device_ptrIfEEEE22summary_stats_unary_opIfEEEPS6_S6_23summary_stats_binary_opIfEEE10hipError_tPvRmT1_T2_T3_mT4_P12ihipStream_tbEUlT_E0_NS1_11comp_targetILNS1_3genE4ELNS1_11target_archE910ELNS1_3gpuE8ELNS1_3repE0EEENS1_30default_config_static_selectorELNS0_4arch9wavefront6targetE0EEEvSR_, .Lfunc_end20-_ZN7rocprim17ROCPRIM_400000_NS6detail17trampoline_kernelINS0_14default_configENS1_22reduce_config_selectorI18summary_stats_dataIfEEEZNS1_11reduce_implILb1ES3_N6thrust23THRUST_200600_302600_NS11hip_rocprim26transform_input_iterator_tIS6_NSA_6detail15normal_iteratorINSA_10device_ptrIfEEEE22summary_stats_unary_opIfEEEPS6_S6_23summary_stats_binary_opIfEEE10hipError_tPvRmT1_T2_T3_mT4_P12ihipStream_tbEUlT_E0_NS1_11comp_targetILNS1_3genE4ELNS1_11target_archE910ELNS1_3gpuE8ELNS1_3repE0EEENS1_30default_config_static_selectorELNS0_4arch9wavefront6targetE0EEEvSR_
                                        ; -- End function
	.section	.AMDGPU.csdata,"",@progbits
; Kernel info:
; codeLenInByte = 0
; NumSgprs: 0
; NumVgprs: 0
; ScratchSize: 0
; MemoryBound: 0
; FloatMode: 240
; IeeeMode: 1
; LDSByteSize: 0 bytes/workgroup (compile time only)
; SGPRBlocks: 0
; VGPRBlocks: 0
; NumSGPRsForWavesPerEU: 1
; NumVGPRsForWavesPerEU: 1
; Occupancy: 16
; WaveLimiterHint : 0
; COMPUTE_PGM_RSRC2:SCRATCH_EN: 0
; COMPUTE_PGM_RSRC2:USER_SGPR: 15
; COMPUTE_PGM_RSRC2:TRAP_HANDLER: 0
; COMPUTE_PGM_RSRC2:TGID_X_EN: 1
; COMPUTE_PGM_RSRC2:TGID_Y_EN: 0
; COMPUTE_PGM_RSRC2:TGID_Z_EN: 0
; COMPUTE_PGM_RSRC2:TIDIG_COMP_CNT: 0
	.section	.text._ZN7rocprim17ROCPRIM_400000_NS6detail17trampoline_kernelINS0_14default_configENS1_22reduce_config_selectorI18summary_stats_dataIfEEEZNS1_11reduce_implILb1ES3_N6thrust23THRUST_200600_302600_NS11hip_rocprim26transform_input_iterator_tIS6_NSA_6detail15normal_iteratorINSA_10device_ptrIfEEEE22summary_stats_unary_opIfEEEPS6_S6_23summary_stats_binary_opIfEEE10hipError_tPvRmT1_T2_T3_mT4_P12ihipStream_tbEUlT_E0_NS1_11comp_targetILNS1_3genE3ELNS1_11target_archE908ELNS1_3gpuE7ELNS1_3repE0EEENS1_30default_config_static_selectorELNS0_4arch9wavefront6targetE0EEEvSR_,"axG",@progbits,_ZN7rocprim17ROCPRIM_400000_NS6detail17trampoline_kernelINS0_14default_configENS1_22reduce_config_selectorI18summary_stats_dataIfEEEZNS1_11reduce_implILb1ES3_N6thrust23THRUST_200600_302600_NS11hip_rocprim26transform_input_iterator_tIS6_NSA_6detail15normal_iteratorINSA_10device_ptrIfEEEE22summary_stats_unary_opIfEEEPS6_S6_23summary_stats_binary_opIfEEE10hipError_tPvRmT1_T2_T3_mT4_P12ihipStream_tbEUlT_E0_NS1_11comp_targetILNS1_3genE3ELNS1_11target_archE908ELNS1_3gpuE7ELNS1_3repE0EEENS1_30default_config_static_selectorELNS0_4arch9wavefront6targetE0EEEvSR_,comdat
	.protected	_ZN7rocprim17ROCPRIM_400000_NS6detail17trampoline_kernelINS0_14default_configENS1_22reduce_config_selectorI18summary_stats_dataIfEEEZNS1_11reduce_implILb1ES3_N6thrust23THRUST_200600_302600_NS11hip_rocprim26transform_input_iterator_tIS6_NSA_6detail15normal_iteratorINSA_10device_ptrIfEEEE22summary_stats_unary_opIfEEEPS6_S6_23summary_stats_binary_opIfEEE10hipError_tPvRmT1_T2_T3_mT4_P12ihipStream_tbEUlT_E0_NS1_11comp_targetILNS1_3genE3ELNS1_11target_archE908ELNS1_3gpuE7ELNS1_3repE0EEENS1_30default_config_static_selectorELNS0_4arch9wavefront6targetE0EEEvSR_ ; -- Begin function _ZN7rocprim17ROCPRIM_400000_NS6detail17trampoline_kernelINS0_14default_configENS1_22reduce_config_selectorI18summary_stats_dataIfEEEZNS1_11reduce_implILb1ES3_N6thrust23THRUST_200600_302600_NS11hip_rocprim26transform_input_iterator_tIS6_NSA_6detail15normal_iteratorINSA_10device_ptrIfEEEE22summary_stats_unary_opIfEEEPS6_S6_23summary_stats_binary_opIfEEE10hipError_tPvRmT1_T2_T3_mT4_P12ihipStream_tbEUlT_E0_NS1_11comp_targetILNS1_3genE3ELNS1_11target_archE908ELNS1_3gpuE7ELNS1_3repE0EEENS1_30default_config_static_selectorELNS0_4arch9wavefront6targetE0EEEvSR_
	.globl	_ZN7rocprim17ROCPRIM_400000_NS6detail17trampoline_kernelINS0_14default_configENS1_22reduce_config_selectorI18summary_stats_dataIfEEEZNS1_11reduce_implILb1ES3_N6thrust23THRUST_200600_302600_NS11hip_rocprim26transform_input_iterator_tIS6_NSA_6detail15normal_iteratorINSA_10device_ptrIfEEEE22summary_stats_unary_opIfEEEPS6_S6_23summary_stats_binary_opIfEEE10hipError_tPvRmT1_T2_T3_mT4_P12ihipStream_tbEUlT_E0_NS1_11comp_targetILNS1_3genE3ELNS1_11target_archE908ELNS1_3gpuE7ELNS1_3repE0EEENS1_30default_config_static_selectorELNS0_4arch9wavefront6targetE0EEEvSR_
	.p2align	8
	.type	_ZN7rocprim17ROCPRIM_400000_NS6detail17trampoline_kernelINS0_14default_configENS1_22reduce_config_selectorI18summary_stats_dataIfEEEZNS1_11reduce_implILb1ES3_N6thrust23THRUST_200600_302600_NS11hip_rocprim26transform_input_iterator_tIS6_NSA_6detail15normal_iteratorINSA_10device_ptrIfEEEE22summary_stats_unary_opIfEEEPS6_S6_23summary_stats_binary_opIfEEE10hipError_tPvRmT1_T2_T3_mT4_P12ihipStream_tbEUlT_E0_NS1_11comp_targetILNS1_3genE3ELNS1_11target_archE908ELNS1_3gpuE7ELNS1_3repE0EEENS1_30default_config_static_selectorELNS0_4arch9wavefront6targetE0EEEvSR_,@function
_ZN7rocprim17ROCPRIM_400000_NS6detail17trampoline_kernelINS0_14default_configENS1_22reduce_config_selectorI18summary_stats_dataIfEEEZNS1_11reduce_implILb1ES3_N6thrust23THRUST_200600_302600_NS11hip_rocprim26transform_input_iterator_tIS6_NSA_6detail15normal_iteratorINSA_10device_ptrIfEEEE22summary_stats_unary_opIfEEEPS6_S6_23summary_stats_binary_opIfEEE10hipError_tPvRmT1_T2_T3_mT4_P12ihipStream_tbEUlT_E0_NS1_11comp_targetILNS1_3genE3ELNS1_11target_archE908ELNS1_3gpuE7ELNS1_3repE0EEENS1_30default_config_static_selectorELNS0_4arch9wavefront6targetE0EEEvSR_: ; @_ZN7rocprim17ROCPRIM_400000_NS6detail17trampoline_kernelINS0_14default_configENS1_22reduce_config_selectorI18summary_stats_dataIfEEEZNS1_11reduce_implILb1ES3_N6thrust23THRUST_200600_302600_NS11hip_rocprim26transform_input_iterator_tIS6_NSA_6detail15normal_iteratorINSA_10device_ptrIfEEEE22summary_stats_unary_opIfEEEPS6_S6_23summary_stats_binary_opIfEEE10hipError_tPvRmT1_T2_T3_mT4_P12ihipStream_tbEUlT_E0_NS1_11comp_targetILNS1_3genE3ELNS1_11target_archE908ELNS1_3gpuE7ELNS1_3repE0EEENS1_30default_config_static_selectorELNS0_4arch9wavefront6targetE0EEEvSR_
; %bb.0:
	.section	.rodata,"a",@progbits
	.p2align	6, 0x0
	.amdhsa_kernel _ZN7rocprim17ROCPRIM_400000_NS6detail17trampoline_kernelINS0_14default_configENS1_22reduce_config_selectorI18summary_stats_dataIfEEEZNS1_11reduce_implILb1ES3_N6thrust23THRUST_200600_302600_NS11hip_rocprim26transform_input_iterator_tIS6_NSA_6detail15normal_iteratorINSA_10device_ptrIfEEEE22summary_stats_unary_opIfEEEPS6_S6_23summary_stats_binary_opIfEEE10hipError_tPvRmT1_T2_T3_mT4_P12ihipStream_tbEUlT_E0_NS1_11comp_targetILNS1_3genE3ELNS1_11target_archE908ELNS1_3gpuE7ELNS1_3repE0EEENS1_30default_config_static_selectorELNS0_4arch9wavefront6targetE0EEEvSR_
		.amdhsa_group_segment_fixed_size 0
		.amdhsa_private_segment_fixed_size 0
		.amdhsa_kernarg_size 88
		.amdhsa_user_sgpr_count 15
		.amdhsa_user_sgpr_dispatch_ptr 0
		.amdhsa_user_sgpr_queue_ptr 0
		.amdhsa_user_sgpr_kernarg_segment_ptr 1
		.amdhsa_user_sgpr_dispatch_id 0
		.amdhsa_user_sgpr_private_segment_size 0
		.amdhsa_wavefront_size32 1
		.amdhsa_uses_dynamic_stack 0
		.amdhsa_enable_private_segment 0
		.amdhsa_system_sgpr_workgroup_id_x 1
		.amdhsa_system_sgpr_workgroup_id_y 0
		.amdhsa_system_sgpr_workgroup_id_z 0
		.amdhsa_system_sgpr_workgroup_info 0
		.amdhsa_system_vgpr_workitem_id 0
		.amdhsa_next_free_vgpr 1
		.amdhsa_next_free_sgpr 1
		.amdhsa_reserve_vcc 0
		.amdhsa_float_round_mode_32 0
		.amdhsa_float_round_mode_16_64 0
		.amdhsa_float_denorm_mode_32 3
		.amdhsa_float_denorm_mode_16_64 3
		.amdhsa_dx10_clamp 1
		.amdhsa_ieee_mode 1
		.amdhsa_fp16_overflow 0
		.amdhsa_workgroup_processor_mode 1
		.amdhsa_memory_ordered 1
		.amdhsa_forward_progress 0
		.amdhsa_shared_vgpr_count 0
		.amdhsa_exception_fp_ieee_invalid_op 0
		.amdhsa_exception_fp_denorm_src 0
		.amdhsa_exception_fp_ieee_div_zero 0
		.amdhsa_exception_fp_ieee_overflow 0
		.amdhsa_exception_fp_ieee_underflow 0
		.amdhsa_exception_fp_ieee_inexact 0
		.amdhsa_exception_int_div_zero 0
	.end_amdhsa_kernel
	.section	.text._ZN7rocprim17ROCPRIM_400000_NS6detail17trampoline_kernelINS0_14default_configENS1_22reduce_config_selectorI18summary_stats_dataIfEEEZNS1_11reduce_implILb1ES3_N6thrust23THRUST_200600_302600_NS11hip_rocprim26transform_input_iterator_tIS6_NSA_6detail15normal_iteratorINSA_10device_ptrIfEEEE22summary_stats_unary_opIfEEEPS6_S6_23summary_stats_binary_opIfEEE10hipError_tPvRmT1_T2_T3_mT4_P12ihipStream_tbEUlT_E0_NS1_11comp_targetILNS1_3genE3ELNS1_11target_archE908ELNS1_3gpuE7ELNS1_3repE0EEENS1_30default_config_static_selectorELNS0_4arch9wavefront6targetE0EEEvSR_,"axG",@progbits,_ZN7rocprim17ROCPRIM_400000_NS6detail17trampoline_kernelINS0_14default_configENS1_22reduce_config_selectorI18summary_stats_dataIfEEEZNS1_11reduce_implILb1ES3_N6thrust23THRUST_200600_302600_NS11hip_rocprim26transform_input_iterator_tIS6_NSA_6detail15normal_iteratorINSA_10device_ptrIfEEEE22summary_stats_unary_opIfEEEPS6_S6_23summary_stats_binary_opIfEEE10hipError_tPvRmT1_T2_T3_mT4_P12ihipStream_tbEUlT_E0_NS1_11comp_targetILNS1_3genE3ELNS1_11target_archE908ELNS1_3gpuE7ELNS1_3repE0EEENS1_30default_config_static_selectorELNS0_4arch9wavefront6targetE0EEEvSR_,comdat
.Lfunc_end21:
	.size	_ZN7rocprim17ROCPRIM_400000_NS6detail17trampoline_kernelINS0_14default_configENS1_22reduce_config_selectorI18summary_stats_dataIfEEEZNS1_11reduce_implILb1ES3_N6thrust23THRUST_200600_302600_NS11hip_rocprim26transform_input_iterator_tIS6_NSA_6detail15normal_iteratorINSA_10device_ptrIfEEEE22summary_stats_unary_opIfEEEPS6_S6_23summary_stats_binary_opIfEEE10hipError_tPvRmT1_T2_T3_mT4_P12ihipStream_tbEUlT_E0_NS1_11comp_targetILNS1_3genE3ELNS1_11target_archE908ELNS1_3gpuE7ELNS1_3repE0EEENS1_30default_config_static_selectorELNS0_4arch9wavefront6targetE0EEEvSR_, .Lfunc_end21-_ZN7rocprim17ROCPRIM_400000_NS6detail17trampoline_kernelINS0_14default_configENS1_22reduce_config_selectorI18summary_stats_dataIfEEEZNS1_11reduce_implILb1ES3_N6thrust23THRUST_200600_302600_NS11hip_rocprim26transform_input_iterator_tIS6_NSA_6detail15normal_iteratorINSA_10device_ptrIfEEEE22summary_stats_unary_opIfEEEPS6_S6_23summary_stats_binary_opIfEEE10hipError_tPvRmT1_T2_T3_mT4_P12ihipStream_tbEUlT_E0_NS1_11comp_targetILNS1_3genE3ELNS1_11target_archE908ELNS1_3gpuE7ELNS1_3repE0EEENS1_30default_config_static_selectorELNS0_4arch9wavefront6targetE0EEEvSR_
                                        ; -- End function
	.section	.AMDGPU.csdata,"",@progbits
; Kernel info:
; codeLenInByte = 0
; NumSgprs: 0
; NumVgprs: 0
; ScratchSize: 0
; MemoryBound: 0
; FloatMode: 240
; IeeeMode: 1
; LDSByteSize: 0 bytes/workgroup (compile time only)
; SGPRBlocks: 0
; VGPRBlocks: 0
; NumSGPRsForWavesPerEU: 1
; NumVGPRsForWavesPerEU: 1
; Occupancy: 16
; WaveLimiterHint : 0
; COMPUTE_PGM_RSRC2:SCRATCH_EN: 0
; COMPUTE_PGM_RSRC2:USER_SGPR: 15
; COMPUTE_PGM_RSRC2:TRAP_HANDLER: 0
; COMPUTE_PGM_RSRC2:TGID_X_EN: 1
; COMPUTE_PGM_RSRC2:TGID_Y_EN: 0
; COMPUTE_PGM_RSRC2:TGID_Z_EN: 0
; COMPUTE_PGM_RSRC2:TIDIG_COMP_CNT: 0
	.section	.text._ZN7rocprim17ROCPRIM_400000_NS6detail17trampoline_kernelINS0_14default_configENS1_22reduce_config_selectorI18summary_stats_dataIfEEEZNS1_11reduce_implILb1ES3_N6thrust23THRUST_200600_302600_NS11hip_rocprim26transform_input_iterator_tIS6_NSA_6detail15normal_iteratorINSA_10device_ptrIfEEEE22summary_stats_unary_opIfEEEPS6_S6_23summary_stats_binary_opIfEEE10hipError_tPvRmT1_T2_T3_mT4_P12ihipStream_tbEUlT_E0_NS1_11comp_targetILNS1_3genE2ELNS1_11target_archE906ELNS1_3gpuE6ELNS1_3repE0EEENS1_30default_config_static_selectorELNS0_4arch9wavefront6targetE0EEEvSR_,"axG",@progbits,_ZN7rocprim17ROCPRIM_400000_NS6detail17trampoline_kernelINS0_14default_configENS1_22reduce_config_selectorI18summary_stats_dataIfEEEZNS1_11reduce_implILb1ES3_N6thrust23THRUST_200600_302600_NS11hip_rocprim26transform_input_iterator_tIS6_NSA_6detail15normal_iteratorINSA_10device_ptrIfEEEE22summary_stats_unary_opIfEEEPS6_S6_23summary_stats_binary_opIfEEE10hipError_tPvRmT1_T2_T3_mT4_P12ihipStream_tbEUlT_E0_NS1_11comp_targetILNS1_3genE2ELNS1_11target_archE906ELNS1_3gpuE6ELNS1_3repE0EEENS1_30default_config_static_selectorELNS0_4arch9wavefront6targetE0EEEvSR_,comdat
	.protected	_ZN7rocprim17ROCPRIM_400000_NS6detail17trampoline_kernelINS0_14default_configENS1_22reduce_config_selectorI18summary_stats_dataIfEEEZNS1_11reduce_implILb1ES3_N6thrust23THRUST_200600_302600_NS11hip_rocprim26transform_input_iterator_tIS6_NSA_6detail15normal_iteratorINSA_10device_ptrIfEEEE22summary_stats_unary_opIfEEEPS6_S6_23summary_stats_binary_opIfEEE10hipError_tPvRmT1_T2_T3_mT4_P12ihipStream_tbEUlT_E0_NS1_11comp_targetILNS1_3genE2ELNS1_11target_archE906ELNS1_3gpuE6ELNS1_3repE0EEENS1_30default_config_static_selectorELNS0_4arch9wavefront6targetE0EEEvSR_ ; -- Begin function _ZN7rocprim17ROCPRIM_400000_NS6detail17trampoline_kernelINS0_14default_configENS1_22reduce_config_selectorI18summary_stats_dataIfEEEZNS1_11reduce_implILb1ES3_N6thrust23THRUST_200600_302600_NS11hip_rocprim26transform_input_iterator_tIS6_NSA_6detail15normal_iteratorINSA_10device_ptrIfEEEE22summary_stats_unary_opIfEEEPS6_S6_23summary_stats_binary_opIfEEE10hipError_tPvRmT1_T2_T3_mT4_P12ihipStream_tbEUlT_E0_NS1_11comp_targetILNS1_3genE2ELNS1_11target_archE906ELNS1_3gpuE6ELNS1_3repE0EEENS1_30default_config_static_selectorELNS0_4arch9wavefront6targetE0EEEvSR_
	.globl	_ZN7rocprim17ROCPRIM_400000_NS6detail17trampoline_kernelINS0_14default_configENS1_22reduce_config_selectorI18summary_stats_dataIfEEEZNS1_11reduce_implILb1ES3_N6thrust23THRUST_200600_302600_NS11hip_rocprim26transform_input_iterator_tIS6_NSA_6detail15normal_iteratorINSA_10device_ptrIfEEEE22summary_stats_unary_opIfEEEPS6_S6_23summary_stats_binary_opIfEEE10hipError_tPvRmT1_T2_T3_mT4_P12ihipStream_tbEUlT_E0_NS1_11comp_targetILNS1_3genE2ELNS1_11target_archE906ELNS1_3gpuE6ELNS1_3repE0EEENS1_30default_config_static_selectorELNS0_4arch9wavefront6targetE0EEEvSR_
	.p2align	8
	.type	_ZN7rocprim17ROCPRIM_400000_NS6detail17trampoline_kernelINS0_14default_configENS1_22reduce_config_selectorI18summary_stats_dataIfEEEZNS1_11reduce_implILb1ES3_N6thrust23THRUST_200600_302600_NS11hip_rocprim26transform_input_iterator_tIS6_NSA_6detail15normal_iteratorINSA_10device_ptrIfEEEE22summary_stats_unary_opIfEEEPS6_S6_23summary_stats_binary_opIfEEE10hipError_tPvRmT1_T2_T3_mT4_P12ihipStream_tbEUlT_E0_NS1_11comp_targetILNS1_3genE2ELNS1_11target_archE906ELNS1_3gpuE6ELNS1_3repE0EEENS1_30default_config_static_selectorELNS0_4arch9wavefront6targetE0EEEvSR_,@function
_ZN7rocprim17ROCPRIM_400000_NS6detail17trampoline_kernelINS0_14default_configENS1_22reduce_config_selectorI18summary_stats_dataIfEEEZNS1_11reduce_implILb1ES3_N6thrust23THRUST_200600_302600_NS11hip_rocprim26transform_input_iterator_tIS6_NSA_6detail15normal_iteratorINSA_10device_ptrIfEEEE22summary_stats_unary_opIfEEEPS6_S6_23summary_stats_binary_opIfEEE10hipError_tPvRmT1_T2_T3_mT4_P12ihipStream_tbEUlT_E0_NS1_11comp_targetILNS1_3genE2ELNS1_11target_archE906ELNS1_3gpuE6ELNS1_3repE0EEENS1_30default_config_static_selectorELNS0_4arch9wavefront6targetE0EEEvSR_: ; @_ZN7rocprim17ROCPRIM_400000_NS6detail17trampoline_kernelINS0_14default_configENS1_22reduce_config_selectorI18summary_stats_dataIfEEEZNS1_11reduce_implILb1ES3_N6thrust23THRUST_200600_302600_NS11hip_rocprim26transform_input_iterator_tIS6_NSA_6detail15normal_iteratorINSA_10device_ptrIfEEEE22summary_stats_unary_opIfEEEPS6_S6_23summary_stats_binary_opIfEEE10hipError_tPvRmT1_T2_T3_mT4_P12ihipStream_tbEUlT_E0_NS1_11comp_targetILNS1_3genE2ELNS1_11target_archE906ELNS1_3gpuE6ELNS1_3repE0EEENS1_30default_config_static_selectorELNS0_4arch9wavefront6targetE0EEEvSR_
; %bb.0:
	.section	.rodata,"a",@progbits
	.p2align	6, 0x0
	.amdhsa_kernel _ZN7rocprim17ROCPRIM_400000_NS6detail17trampoline_kernelINS0_14default_configENS1_22reduce_config_selectorI18summary_stats_dataIfEEEZNS1_11reduce_implILb1ES3_N6thrust23THRUST_200600_302600_NS11hip_rocprim26transform_input_iterator_tIS6_NSA_6detail15normal_iteratorINSA_10device_ptrIfEEEE22summary_stats_unary_opIfEEEPS6_S6_23summary_stats_binary_opIfEEE10hipError_tPvRmT1_T2_T3_mT4_P12ihipStream_tbEUlT_E0_NS1_11comp_targetILNS1_3genE2ELNS1_11target_archE906ELNS1_3gpuE6ELNS1_3repE0EEENS1_30default_config_static_selectorELNS0_4arch9wavefront6targetE0EEEvSR_
		.amdhsa_group_segment_fixed_size 0
		.amdhsa_private_segment_fixed_size 0
		.amdhsa_kernarg_size 88
		.amdhsa_user_sgpr_count 15
		.amdhsa_user_sgpr_dispatch_ptr 0
		.amdhsa_user_sgpr_queue_ptr 0
		.amdhsa_user_sgpr_kernarg_segment_ptr 1
		.amdhsa_user_sgpr_dispatch_id 0
		.amdhsa_user_sgpr_private_segment_size 0
		.amdhsa_wavefront_size32 1
		.amdhsa_uses_dynamic_stack 0
		.amdhsa_enable_private_segment 0
		.amdhsa_system_sgpr_workgroup_id_x 1
		.amdhsa_system_sgpr_workgroup_id_y 0
		.amdhsa_system_sgpr_workgroup_id_z 0
		.amdhsa_system_sgpr_workgroup_info 0
		.amdhsa_system_vgpr_workitem_id 0
		.amdhsa_next_free_vgpr 1
		.amdhsa_next_free_sgpr 1
		.amdhsa_reserve_vcc 0
		.amdhsa_float_round_mode_32 0
		.amdhsa_float_round_mode_16_64 0
		.amdhsa_float_denorm_mode_32 3
		.amdhsa_float_denorm_mode_16_64 3
		.amdhsa_dx10_clamp 1
		.amdhsa_ieee_mode 1
		.amdhsa_fp16_overflow 0
		.amdhsa_workgroup_processor_mode 1
		.amdhsa_memory_ordered 1
		.amdhsa_forward_progress 0
		.amdhsa_shared_vgpr_count 0
		.amdhsa_exception_fp_ieee_invalid_op 0
		.amdhsa_exception_fp_denorm_src 0
		.amdhsa_exception_fp_ieee_div_zero 0
		.amdhsa_exception_fp_ieee_overflow 0
		.amdhsa_exception_fp_ieee_underflow 0
		.amdhsa_exception_fp_ieee_inexact 0
		.amdhsa_exception_int_div_zero 0
	.end_amdhsa_kernel
	.section	.text._ZN7rocprim17ROCPRIM_400000_NS6detail17trampoline_kernelINS0_14default_configENS1_22reduce_config_selectorI18summary_stats_dataIfEEEZNS1_11reduce_implILb1ES3_N6thrust23THRUST_200600_302600_NS11hip_rocprim26transform_input_iterator_tIS6_NSA_6detail15normal_iteratorINSA_10device_ptrIfEEEE22summary_stats_unary_opIfEEEPS6_S6_23summary_stats_binary_opIfEEE10hipError_tPvRmT1_T2_T3_mT4_P12ihipStream_tbEUlT_E0_NS1_11comp_targetILNS1_3genE2ELNS1_11target_archE906ELNS1_3gpuE6ELNS1_3repE0EEENS1_30default_config_static_selectorELNS0_4arch9wavefront6targetE0EEEvSR_,"axG",@progbits,_ZN7rocprim17ROCPRIM_400000_NS6detail17trampoline_kernelINS0_14default_configENS1_22reduce_config_selectorI18summary_stats_dataIfEEEZNS1_11reduce_implILb1ES3_N6thrust23THRUST_200600_302600_NS11hip_rocprim26transform_input_iterator_tIS6_NSA_6detail15normal_iteratorINSA_10device_ptrIfEEEE22summary_stats_unary_opIfEEEPS6_S6_23summary_stats_binary_opIfEEE10hipError_tPvRmT1_T2_T3_mT4_P12ihipStream_tbEUlT_E0_NS1_11comp_targetILNS1_3genE2ELNS1_11target_archE906ELNS1_3gpuE6ELNS1_3repE0EEENS1_30default_config_static_selectorELNS0_4arch9wavefront6targetE0EEEvSR_,comdat
.Lfunc_end22:
	.size	_ZN7rocprim17ROCPRIM_400000_NS6detail17trampoline_kernelINS0_14default_configENS1_22reduce_config_selectorI18summary_stats_dataIfEEEZNS1_11reduce_implILb1ES3_N6thrust23THRUST_200600_302600_NS11hip_rocprim26transform_input_iterator_tIS6_NSA_6detail15normal_iteratorINSA_10device_ptrIfEEEE22summary_stats_unary_opIfEEEPS6_S6_23summary_stats_binary_opIfEEE10hipError_tPvRmT1_T2_T3_mT4_P12ihipStream_tbEUlT_E0_NS1_11comp_targetILNS1_3genE2ELNS1_11target_archE906ELNS1_3gpuE6ELNS1_3repE0EEENS1_30default_config_static_selectorELNS0_4arch9wavefront6targetE0EEEvSR_, .Lfunc_end22-_ZN7rocprim17ROCPRIM_400000_NS6detail17trampoline_kernelINS0_14default_configENS1_22reduce_config_selectorI18summary_stats_dataIfEEEZNS1_11reduce_implILb1ES3_N6thrust23THRUST_200600_302600_NS11hip_rocprim26transform_input_iterator_tIS6_NSA_6detail15normal_iteratorINSA_10device_ptrIfEEEE22summary_stats_unary_opIfEEEPS6_S6_23summary_stats_binary_opIfEEE10hipError_tPvRmT1_T2_T3_mT4_P12ihipStream_tbEUlT_E0_NS1_11comp_targetILNS1_3genE2ELNS1_11target_archE906ELNS1_3gpuE6ELNS1_3repE0EEENS1_30default_config_static_selectorELNS0_4arch9wavefront6targetE0EEEvSR_
                                        ; -- End function
	.section	.AMDGPU.csdata,"",@progbits
; Kernel info:
; codeLenInByte = 0
; NumSgprs: 0
; NumVgprs: 0
; ScratchSize: 0
; MemoryBound: 0
; FloatMode: 240
; IeeeMode: 1
; LDSByteSize: 0 bytes/workgroup (compile time only)
; SGPRBlocks: 0
; VGPRBlocks: 0
; NumSGPRsForWavesPerEU: 1
; NumVGPRsForWavesPerEU: 1
; Occupancy: 16
; WaveLimiterHint : 0
; COMPUTE_PGM_RSRC2:SCRATCH_EN: 0
; COMPUTE_PGM_RSRC2:USER_SGPR: 15
; COMPUTE_PGM_RSRC2:TRAP_HANDLER: 0
; COMPUTE_PGM_RSRC2:TGID_X_EN: 1
; COMPUTE_PGM_RSRC2:TGID_Y_EN: 0
; COMPUTE_PGM_RSRC2:TGID_Z_EN: 0
; COMPUTE_PGM_RSRC2:TIDIG_COMP_CNT: 0
	.section	.text._ZN7rocprim17ROCPRIM_400000_NS6detail17trampoline_kernelINS0_14default_configENS1_22reduce_config_selectorI18summary_stats_dataIfEEEZNS1_11reduce_implILb1ES3_N6thrust23THRUST_200600_302600_NS11hip_rocprim26transform_input_iterator_tIS6_NSA_6detail15normal_iteratorINSA_10device_ptrIfEEEE22summary_stats_unary_opIfEEEPS6_S6_23summary_stats_binary_opIfEEE10hipError_tPvRmT1_T2_T3_mT4_P12ihipStream_tbEUlT_E0_NS1_11comp_targetILNS1_3genE10ELNS1_11target_archE1201ELNS1_3gpuE5ELNS1_3repE0EEENS1_30default_config_static_selectorELNS0_4arch9wavefront6targetE0EEEvSR_,"axG",@progbits,_ZN7rocprim17ROCPRIM_400000_NS6detail17trampoline_kernelINS0_14default_configENS1_22reduce_config_selectorI18summary_stats_dataIfEEEZNS1_11reduce_implILb1ES3_N6thrust23THRUST_200600_302600_NS11hip_rocprim26transform_input_iterator_tIS6_NSA_6detail15normal_iteratorINSA_10device_ptrIfEEEE22summary_stats_unary_opIfEEEPS6_S6_23summary_stats_binary_opIfEEE10hipError_tPvRmT1_T2_T3_mT4_P12ihipStream_tbEUlT_E0_NS1_11comp_targetILNS1_3genE10ELNS1_11target_archE1201ELNS1_3gpuE5ELNS1_3repE0EEENS1_30default_config_static_selectorELNS0_4arch9wavefront6targetE0EEEvSR_,comdat
	.protected	_ZN7rocprim17ROCPRIM_400000_NS6detail17trampoline_kernelINS0_14default_configENS1_22reduce_config_selectorI18summary_stats_dataIfEEEZNS1_11reduce_implILb1ES3_N6thrust23THRUST_200600_302600_NS11hip_rocprim26transform_input_iterator_tIS6_NSA_6detail15normal_iteratorINSA_10device_ptrIfEEEE22summary_stats_unary_opIfEEEPS6_S6_23summary_stats_binary_opIfEEE10hipError_tPvRmT1_T2_T3_mT4_P12ihipStream_tbEUlT_E0_NS1_11comp_targetILNS1_3genE10ELNS1_11target_archE1201ELNS1_3gpuE5ELNS1_3repE0EEENS1_30default_config_static_selectorELNS0_4arch9wavefront6targetE0EEEvSR_ ; -- Begin function _ZN7rocprim17ROCPRIM_400000_NS6detail17trampoline_kernelINS0_14default_configENS1_22reduce_config_selectorI18summary_stats_dataIfEEEZNS1_11reduce_implILb1ES3_N6thrust23THRUST_200600_302600_NS11hip_rocprim26transform_input_iterator_tIS6_NSA_6detail15normal_iteratorINSA_10device_ptrIfEEEE22summary_stats_unary_opIfEEEPS6_S6_23summary_stats_binary_opIfEEE10hipError_tPvRmT1_T2_T3_mT4_P12ihipStream_tbEUlT_E0_NS1_11comp_targetILNS1_3genE10ELNS1_11target_archE1201ELNS1_3gpuE5ELNS1_3repE0EEENS1_30default_config_static_selectorELNS0_4arch9wavefront6targetE0EEEvSR_
	.globl	_ZN7rocprim17ROCPRIM_400000_NS6detail17trampoline_kernelINS0_14default_configENS1_22reduce_config_selectorI18summary_stats_dataIfEEEZNS1_11reduce_implILb1ES3_N6thrust23THRUST_200600_302600_NS11hip_rocprim26transform_input_iterator_tIS6_NSA_6detail15normal_iteratorINSA_10device_ptrIfEEEE22summary_stats_unary_opIfEEEPS6_S6_23summary_stats_binary_opIfEEE10hipError_tPvRmT1_T2_T3_mT4_P12ihipStream_tbEUlT_E0_NS1_11comp_targetILNS1_3genE10ELNS1_11target_archE1201ELNS1_3gpuE5ELNS1_3repE0EEENS1_30default_config_static_selectorELNS0_4arch9wavefront6targetE0EEEvSR_
	.p2align	8
	.type	_ZN7rocprim17ROCPRIM_400000_NS6detail17trampoline_kernelINS0_14default_configENS1_22reduce_config_selectorI18summary_stats_dataIfEEEZNS1_11reduce_implILb1ES3_N6thrust23THRUST_200600_302600_NS11hip_rocprim26transform_input_iterator_tIS6_NSA_6detail15normal_iteratorINSA_10device_ptrIfEEEE22summary_stats_unary_opIfEEEPS6_S6_23summary_stats_binary_opIfEEE10hipError_tPvRmT1_T2_T3_mT4_P12ihipStream_tbEUlT_E0_NS1_11comp_targetILNS1_3genE10ELNS1_11target_archE1201ELNS1_3gpuE5ELNS1_3repE0EEENS1_30default_config_static_selectorELNS0_4arch9wavefront6targetE0EEEvSR_,@function
_ZN7rocprim17ROCPRIM_400000_NS6detail17trampoline_kernelINS0_14default_configENS1_22reduce_config_selectorI18summary_stats_dataIfEEEZNS1_11reduce_implILb1ES3_N6thrust23THRUST_200600_302600_NS11hip_rocprim26transform_input_iterator_tIS6_NSA_6detail15normal_iteratorINSA_10device_ptrIfEEEE22summary_stats_unary_opIfEEEPS6_S6_23summary_stats_binary_opIfEEE10hipError_tPvRmT1_T2_T3_mT4_P12ihipStream_tbEUlT_E0_NS1_11comp_targetILNS1_3genE10ELNS1_11target_archE1201ELNS1_3gpuE5ELNS1_3repE0EEENS1_30default_config_static_selectorELNS0_4arch9wavefront6targetE0EEEvSR_: ; @_ZN7rocprim17ROCPRIM_400000_NS6detail17trampoline_kernelINS0_14default_configENS1_22reduce_config_selectorI18summary_stats_dataIfEEEZNS1_11reduce_implILb1ES3_N6thrust23THRUST_200600_302600_NS11hip_rocprim26transform_input_iterator_tIS6_NSA_6detail15normal_iteratorINSA_10device_ptrIfEEEE22summary_stats_unary_opIfEEEPS6_S6_23summary_stats_binary_opIfEEE10hipError_tPvRmT1_T2_T3_mT4_P12ihipStream_tbEUlT_E0_NS1_11comp_targetILNS1_3genE10ELNS1_11target_archE1201ELNS1_3gpuE5ELNS1_3repE0EEENS1_30default_config_static_selectorELNS0_4arch9wavefront6targetE0EEEvSR_
; %bb.0:
	.section	.rodata,"a",@progbits
	.p2align	6, 0x0
	.amdhsa_kernel _ZN7rocprim17ROCPRIM_400000_NS6detail17trampoline_kernelINS0_14default_configENS1_22reduce_config_selectorI18summary_stats_dataIfEEEZNS1_11reduce_implILb1ES3_N6thrust23THRUST_200600_302600_NS11hip_rocprim26transform_input_iterator_tIS6_NSA_6detail15normal_iteratorINSA_10device_ptrIfEEEE22summary_stats_unary_opIfEEEPS6_S6_23summary_stats_binary_opIfEEE10hipError_tPvRmT1_T2_T3_mT4_P12ihipStream_tbEUlT_E0_NS1_11comp_targetILNS1_3genE10ELNS1_11target_archE1201ELNS1_3gpuE5ELNS1_3repE0EEENS1_30default_config_static_selectorELNS0_4arch9wavefront6targetE0EEEvSR_
		.amdhsa_group_segment_fixed_size 0
		.amdhsa_private_segment_fixed_size 0
		.amdhsa_kernarg_size 88
		.amdhsa_user_sgpr_count 15
		.amdhsa_user_sgpr_dispatch_ptr 0
		.amdhsa_user_sgpr_queue_ptr 0
		.amdhsa_user_sgpr_kernarg_segment_ptr 1
		.amdhsa_user_sgpr_dispatch_id 0
		.amdhsa_user_sgpr_private_segment_size 0
		.amdhsa_wavefront_size32 1
		.amdhsa_uses_dynamic_stack 0
		.amdhsa_enable_private_segment 0
		.amdhsa_system_sgpr_workgroup_id_x 1
		.amdhsa_system_sgpr_workgroup_id_y 0
		.amdhsa_system_sgpr_workgroup_id_z 0
		.amdhsa_system_sgpr_workgroup_info 0
		.amdhsa_system_vgpr_workitem_id 0
		.amdhsa_next_free_vgpr 1
		.amdhsa_next_free_sgpr 1
		.amdhsa_reserve_vcc 0
		.amdhsa_float_round_mode_32 0
		.amdhsa_float_round_mode_16_64 0
		.amdhsa_float_denorm_mode_32 3
		.amdhsa_float_denorm_mode_16_64 3
		.amdhsa_dx10_clamp 1
		.amdhsa_ieee_mode 1
		.amdhsa_fp16_overflow 0
		.amdhsa_workgroup_processor_mode 1
		.amdhsa_memory_ordered 1
		.amdhsa_forward_progress 0
		.amdhsa_shared_vgpr_count 0
		.amdhsa_exception_fp_ieee_invalid_op 0
		.amdhsa_exception_fp_denorm_src 0
		.amdhsa_exception_fp_ieee_div_zero 0
		.amdhsa_exception_fp_ieee_overflow 0
		.amdhsa_exception_fp_ieee_underflow 0
		.amdhsa_exception_fp_ieee_inexact 0
		.amdhsa_exception_int_div_zero 0
	.end_amdhsa_kernel
	.section	.text._ZN7rocprim17ROCPRIM_400000_NS6detail17trampoline_kernelINS0_14default_configENS1_22reduce_config_selectorI18summary_stats_dataIfEEEZNS1_11reduce_implILb1ES3_N6thrust23THRUST_200600_302600_NS11hip_rocprim26transform_input_iterator_tIS6_NSA_6detail15normal_iteratorINSA_10device_ptrIfEEEE22summary_stats_unary_opIfEEEPS6_S6_23summary_stats_binary_opIfEEE10hipError_tPvRmT1_T2_T3_mT4_P12ihipStream_tbEUlT_E0_NS1_11comp_targetILNS1_3genE10ELNS1_11target_archE1201ELNS1_3gpuE5ELNS1_3repE0EEENS1_30default_config_static_selectorELNS0_4arch9wavefront6targetE0EEEvSR_,"axG",@progbits,_ZN7rocprim17ROCPRIM_400000_NS6detail17trampoline_kernelINS0_14default_configENS1_22reduce_config_selectorI18summary_stats_dataIfEEEZNS1_11reduce_implILb1ES3_N6thrust23THRUST_200600_302600_NS11hip_rocprim26transform_input_iterator_tIS6_NSA_6detail15normal_iteratorINSA_10device_ptrIfEEEE22summary_stats_unary_opIfEEEPS6_S6_23summary_stats_binary_opIfEEE10hipError_tPvRmT1_T2_T3_mT4_P12ihipStream_tbEUlT_E0_NS1_11comp_targetILNS1_3genE10ELNS1_11target_archE1201ELNS1_3gpuE5ELNS1_3repE0EEENS1_30default_config_static_selectorELNS0_4arch9wavefront6targetE0EEEvSR_,comdat
.Lfunc_end23:
	.size	_ZN7rocprim17ROCPRIM_400000_NS6detail17trampoline_kernelINS0_14default_configENS1_22reduce_config_selectorI18summary_stats_dataIfEEEZNS1_11reduce_implILb1ES3_N6thrust23THRUST_200600_302600_NS11hip_rocprim26transform_input_iterator_tIS6_NSA_6detail15normal_iteratorINSA_10device_ptrIfEEEE22summary_stats_unary_opIfEEEPS6_S6_23summary_stats_binary_opIfEEE10hipError_tPvRmT1_T2_T3_mT4_P12ihipStream_tbEUlT_E0_NS1_11comp_targetILNS1_3genE10ELNS1_11target_archE1201ELNS1_3gpuE5ELNS1_3repE0EEENS1_30default_config_static_selectorELNS0_4arch9wavefront6targetE0EEEvSR_, .Lfunc_end23-_ZN7rocprim17ROCPRIM_400000_NS6detail17trampoline_kernelINS0_14default_configENS1_22reduce_config_selectorI18summary_stats_dataIfEEEZNS1_11reduce_implILb1ES3_N6thrust23THRUST_200600_302600_NS11hip_rocprim26transform_input_iterator_tIS6_NSA_6detail15normal_iteratorINSA_10device_ptrIfEEEE22summary_stats_unary_opIfEEEPS6_S6_23summary_stats_binary_opIfEEE10hipError_tPvRmT1_T2_T3_mT4_P12ihipStream_tbEUlT_E0_NS1_11comp_targetILNS1_3genE10ELNS1_11target_archE1201ELNS1_3gpuE5ELNS1_3repE0EEENS1_30default_config_static_selectorELNS0_4arch9wavefront6targetE0EEEvSR_
                                        ; -- End function
	.section	.AMDGPU.csdata,"",@progbits
; Kernel info:
; codeLenInByte = 0
; NumSgprs: 0
; NumVgprs: 0
; ScratchSize: 0
; MemoryBound: 0
; FloatMode: 240
; IeeeMode: 1
; LDSByteSize: 0 bytes/workgroup (compile time only)
; SGPRBlocks: 0
; VGPRBlocks: 0
; NumSGPRsForWavesPerEU: 1
; NumVGPRsForWavesPerEU: 1
; Occupancy: 16
; WaveLimiterHint : 0
; COMPUTE_PGM_RSRC2:SCRATCH_EN: 0
; COMPUTE_PGM_RSRC2:USER_SGPR: 15
; COMPUTE_PGM_RSRC2:TRAP_HANDLER: 0
; COMPUTE_PGM_RSRC2:TGID_X_EN: 1
; COMPUTE_PGM_RSRC2:TGID_Y_EN: 0
; COMPUTE_PGM_RSRC2:TGID_Z_EN: 0
; COMPUTE_PGM_RSRC2:TIDIG_COMP_CNT: 0
	.section	.text._ZN7rocprim17ROCPRIM_400000_NS6detail17trampoline_kernelINS0_14default_configENS1_22reduce_config_selectorI18summary_stats_dataIfEEEZNS1_11reduce_implILb1ES3_N6thrust23THRUST_200600_302600_NS11hip_rocprim26transform_input_iterator_tIS6_NSA_6detail15normal_iteratorINSA_10device_ptrIfEEEE22summary_stats_unary_opIfEEEPS6_S6_23summary_stats_binary_opIfEEE10hipError_tPvRmT1_T2_T3_mT4_P12ihipStream_tbEUlT_E0_NS1_11comp_targetILNS1_3genE10ELNS1_11target_archE1200ELNS1_3gpuE4ELNS1_3repE0EEENS1_30default_config_static_selectorELNS0_4arch9wavefront6targetE0EEEvSR_,"axG",@progbits,_ZN7rocprim17ROCPRIM_400000_NS6detail17trampoline_kernelINS0_14default_configENS1_22reduce_config_selectorI18summary_stats_dataIfEEEZNS1_11reduce_implILb1ES3_N6thrust23THRUST_200600_302600_NS11hip_rocprim26transform_input_iterator_tIS6_NSA_6detail15normal_iteratorINSA_10device_ptrIfEEEE22summary_stats_unary_opIfEEEPS6_S6_23summary_stats_binary_opIfEEE10hipError_tPvRmT1_T2_T3_mT4_P12ihipStream_tbEUlT_E0_NS1_11comp_targetILNS1_3genE10ELNS1_11target_archE1200ELNS1_3gpuE4ELNS1_3repE0EEENS1_30default_config_static_selectorELNS0_4arch9wavefront6targetE0EEEvSR_,comdat
	.protected	_ZN7rocprim17ROCPRIM_400000_NS6detail17trampoline_kernelINS0_14default_configENS1_22reduce_config_selectorI18summary_stats_dataIfEEEZNS1_11reduce_implILb1ES3_N6thrust23THRUST_200600_302600_NS11hip_rocprim26transform_input_iterator_tIS6_NSA_6detail15normal_iteratorINSA_10device_ptrIfEEEE22summary_stats_unary_opIfEEEPS6_S6_23summary_stats_binary_opIfEEE10hipError_tPvRmT1_T2_T3_mT4_P12ihipStream_tbEUlT_E0_NS1_11comp_targetILNS1_3genE10ELNS1_11target_archE1200ELNS1_3gpuE4ELNS1_3repE0EEENS1_30default_config_static_selectorELNS0_4arch9wavefront6targetE0EEEvSR_ ; -- Begin function _ZN7rocprim17ROCPRIM_400000_NS6detail17trampoline_kernelINS0_14default_configENS1_22reduce_config_selectorI18summary_stats_dataIfEEEZNS1_11reduce_implILb1ES3_N6thrust23THRUST_200600_302600_NS11hip_rocprim26transform_input_iterator_tIS6_NSA_6detail15normal_iteratorINSA_10device_ptrIfEEEE22summary_stats_unary_opIfEEEPS6_S6_23summary_stats_binary_opIfEEE10hipError_tPvRmT1_T2_T3_mT4_P12ihipStream_tbEUlT_E0_NS1_11comp_targetILNS1_3genE10ELNS1_11target_archE1200ELNS1_3gpuE4ELNS1_3repE0EEENS1_30default_config_static_selectorELNS0_4arch9wavefront6targetE0EEEvSR_
	.globl	_ZN7rocprim17ROCPRIM_400000_NS6detail17trampoline_kernelINS0_14default_configENS1_22reduce_config_selectorI18summary_stats_dataIfEEEZNS1_11reduce_implILb1ES3_N6thrust23THRUST_200600_302600_NS11hip_rocprim26transform_input_iterator_tIS6_NSA_6detail15normal_iteratorINSA_10device_ptrIfEEEE22summary_stats_unary_opIfEEEPS6_S6_23summary_stats_binary_opIfEEE10hipError_tPvRmT1_T2_T3_mT4_P12ihipStream_tbEUlT_E0_NS1_11comp_targetILNS1_3genE10ELNS1_11target_archE1200ELNS1_3gpuE4ELNS1_3repE0EEENS1_30default_config_static_selectorELNS0_4arch9wavefront6targetE0EEEvSR_
	.p2align	8
	.type	_ZN7rocprim17ROCPRIM_400000_NS6detail17trampoline_kernelINS0_14default_configENS1_22reduce_config_selectorI18summary_stats_dataIfEEEZNS1_11reduce_implILb1ES3_N6thrust23THRUST_200600_302600_NS11hip_rocprim26transform_input_iterator_tIS6_NSA_6detail15normal_iteratorINSA_10device_ptrIfEEEE22summary_stats_unary_opIfEEEPS6_S6_23summary_stats_binary_opIfEEE10hipError_tPvRmT1_T2_T3_mT4_P12ihipStream_tbEUlT_E0_NS1_11comp_targetILNS1_3genE10ELNS1_11target_archE1200ELNS1_3gpuE4ELNS1_3repE0EEENS1_30default_config_static_selectorELNS0_4arch9wavefront6targetE0EEEvSR_,@function
_ZN7rocprim17ROCPRIM_400000_NS6detail17trampoline_kernelINS0_14default_configENS1_22reduce_config_selectorI18summary_stats_dataIfEEEZNS1_11reduce_implILb1ES3_N6thrust23THRUST_200600_302600_NS11hip_rocprim26transform_input_iterator_tIS6_NSA_6detail15normal_iteratorINSA_10device_ptrIfEEEE22summary_stats_unary_opIfEEEPS6_S6_23summary_stats_binary_opIfEEE10hipError_tPvRmT1_T2_T3_mT4_P12ihipStream_tbEUlT_E0_NS1_11comp_targetILNS1_3genE10ELNS1_11target_archE1200ELNS1_3gpuE4ELNS1_3repE0EEENS1_30default_config_static_selectorELNS0_4arch9wavefront6targetE0EEEvSR_: ; @_ZN7rocprim17ROCPRIM_400000_NS6detail17trampoline_kernelINS0_14default_configENS1_22reduce_config_selectorI18summary_stats_dataIfEEEZNS1_11reduce_implILb1ES3_N6thrust23THRUST_200600_302600_NS11hip_rocprim26transform_input_iterator_tIS6_NSA_6detail15normal_iteratorINSA_10device_ptrIfEEEE22summary_stats_unary_opIfEEEPS6_S6_23summary_stats_binary_opIfEEE10hipError_tPvRmT1_T2_T3_mT4_P12ihipStream_tbEUlT_E0_NS1_11comp_targetILNS1_3genE10ELNS1_11target_archE1200ELNS1_3gpuE4ELNS1_3repE0EEENS1_30default_config_static_selectorELNS0_4arch9wavefront6targetE0EEEvSR_
; %bb.0:
	.section	.rodata,"a",@progbits
	.p2align	6, 0x0
	.amdhsa_kernel _ZN7rocprim17ROCPRIM_400000_NS6detail17trampoline_kernelINS0_14default_configENS1_22reduce_config_selectorI18summary_stats_dataIfEEEZNS1_11reduce_implILb1ES3_N6thrust23THRUST_200600_302600_NS11hip_rocprim26transform_input_iterator_tIS6_NSA_6detail15normal_iteratorINSA_10device_ptrIfEEEE22summary_stats_unary_opIfEEEPS6_S6_23summary_stats_binary_opIfEEE10hipError_tPvRmT1_T2_T3_mT4_P12ihipStream_tbEUlT_E0_NS1_11comp_targetILNS1_3genE10ELNS1_11target_archE1200ELNS1_3gpuE4ELNS1_3repE0EEENS1_30default_config_static_selectorELNS0_4arch9wavefront6targetE0EEEvSR_
		.amdhsa_group_segment_fixed_size 0
		.amdhsa_private_segment_fixed_size 0
		.amdhsa_kernarg_size 88
		.amdhsa_user_sgpr_count 15
		.amdhsa_user_sgpr_dispatch_ptr 0
		.amdhsa_user_sgpr_queue_ptr 0
		.amdhsa_user_sgpr_kernarg_segment_ptr 1
		.amdhsa_user_sgpr_dispatch_id 0
		.amdhsa_user_sgpr_private_segment_size 0
		.amdhsa_wavefront_size32 1
		.amdhsa_uses_dynamic_stack 0
		.amdhsa_enable_private_segment 0
		.amdhsa_system_sgpr_workgroup_id_x 1
		.amdhsa_system_sgpr_workgroup_id_y 0
		.amdhsa_system_sgpr_workgroup_id_z 0
		.amdhsa_system_sgpr_workgroup_info 0
		.amdhsa_system_vgpr_workitem_id 0
		.amdhsa_next_free_vgpr 1
		.amdhsa_next_free_sgpr 1
		.amdhsa_reserve_vcc 0
		.amdhsa_float_round_mode_32 0
		.amdhsa_float_round_mode_16_64 0
		.amdhsa_float_denorm_mode_32 3
		.amdhsa_float_denorm_mode_16_64 3
		.amdhsa_dx10_clamp 1
		.amdhsa_ieee_mode 1
		.amdhsa_fp16_overflow 0
		.amdhsa_workgroup_processor_mode 1
		.amdhsa_memory_ordered 1
		.amdhsa_forward_progress 0
		.amdhsa_shared_vgpr_count 0
		.amdhsa_exception_fp_ieee_invalid_op 0
		.amdhsa_exception_fp_denorm_src 0
		.amdhsa_exception_fp_ieee_div_zero 0
		.amdhsa_exception_fp_ieee_overflow 0
		.amdhsa_exception_fp_ieee_underflow 0
		.amdhsa_exception_fp_ieee_inexact 0
		.amdhsa_exception_int_div_zero 0
	.end_amdhsa_kernel
	.section	.text._ZN7rocprim17ROCPRIM_400000_NS6detail17trampoline_kernelINS0_14default_configENS1_22reduce_config_selectorI18summary_stats_dataIfEEEZNS1_11reduce_implILb1ES3_N6thrust23THRUST_200600_302600_NS11hip_rocprim26transform_input_iterator_tIS6_NSA_6detail15normal_iteratorINSA_10device_ptrIfEEEE22summary_stats_unary_opIfEEEPS6_S6_23summary_stats_binary_opIfEEE10hipError_tPvRmT1_T2_T3_mT4_P12ihipStream_tbEUlT_E0_NS1_11comp_targetILNS1_3genE10ELNS1_11target_archE1200ELNS1_3gpuE4ELNS1_3repE0EEENS1_30default_config_static_selectorELNS0_4arch9wavefront6targetE0EEEvSR_,"axG",@progbits,_ZN7rocprim17ROCPRIM_400000_NS6detail17trampoline_kernelINS0_14default_configENS1_22reduce_config_selectorI18summary_stats_dataIfEEEZNS1_11reduce_implILb1ES3_N6thrust23THRUST_200600_302600_NS11hip_rocprim26transform_input_iterator_tIS6_NSA_6detail15normal_iteratorINSA_10device_ptrIfEEEE22summary_stats_unary_opIfEEEPS6_S6_23summary_stats_binary_opIfEEE10hipError_tPvRmT1_T2_T3_mT4_P12ihipStream_tbEUlT_E0_NS1_11comp_targetILNS1_3genE10ELNS1_11target_archE1200ELNS1_3gpuE4ELNS1_3repE0EEENS1_30default_config_static_selectorELNS0_4arch9wavefront6targetE0EEEvSR_,comdat
.Lfunc_end24:
	.size	_ZN7rocprim17ROCPRIM_400000_NS6detail17trampoline_kernelINS0_14default_configENS1_22reduce_config_selectorI18summary_stats_dataIfEEEZNS1_11reduce_implILb1ES3_N6thrust23THRUST_200600_302600_NS11hip_rocprim26transform_input_iterator_tIS6_NSA_6detail15normal_iteratorINSA_10device_ptrIfEEEE22summary_stats_unary_opIfEEEPS6_S6_23summary_stats_binary_opIfEEE10hipError_tPvRmT1_T2_T3_mT4_P12ihipStream_tbEUlT_E0_NS1_11comp_targetILNS1_3genE10ELNS1_11target_archE1200ELNS1_3gpuE4ELNS1_3repE0EEENS1_30default_config_static_selectorELNS0_4arch9wavefront6targetE0EEEvSR_, .Lfunc_end24-_ZN7rocprim17ROCPRIM_400000_NS6detail17trampoline_kernelINS0_14default_configENS1_22reduce_config_selectorI18summary_stats_dataIfEEEZNS1_11reduce_implILb1ES3_N6thrust23THRUST_200600_302600_NS11hip_rocprim26transform_input_iterator_tIS6_NSA_6detail15normal_iteratorINSA_10device_ptrIfEEEE22summary_stats_unary_opIfEEEPS6_S6_23summary_stats_binary_opIfEEE10hipError_tPvRmT1_T2_T3_mT4_P12ihipStream_tbEUlT_E0_NS1_11comp_targetILNS1_3genE10ELNS1_11target_archE1200ELNS1_3gpuE4ELNS1_3repE0EEENS1_30default_config_static_selectorELNS0_4arch9wavefront6targetE0EEEvSR_
                                        ; -- End function
	.section	.AMDGPU.csdata,"",@progbits
; Kernel info:
; codeLenInByte = 0
; NumSgprs: 0
; NumVgprs: 0
; ScratchSize: 0
; MemoryBound: 0
; FloatMode: 240
; IeeeMode: 1
; LDSByteSize: 0 bytes/workgroup (compile time only)
; SGPRBlocks: 0
; VGPRBlocks: 0
; NumSGPRsForWavesPerEU: 1
; NumVGPRsForWavesPerEU: 1
; Occupancy: 16
; WaveLimiterHint : 0
; COMPUTE_PGM_RSRC2:SCRATCH_EN: 0
; COMPUTE_PGM_RSRC2:USER_SGPR: 15
; COMPUTE_PGM_RSRC2:TRAP_HANDLER: 0
; COMPUTE_PGM_RSRC2:TGID_X_EN: 1
; COMPUTE_PGM_RSRC2:TGID_Y_EN: 0
; COMPUTE_PGM_RSRC2:TGID_Z_EN: 0
; COMPUTE_PGM_RSRC2:TIDIG_COMP_CNT: 0
	.section	.text._ZN7rocprim17ROCPRIM_400000_NS6detail17trampoline_kernelINS0_14default_configENS1_22reduce_config_selectorI18summary_stats_dataIfEEEZNS1_11reduce_implILb1ES3_N6thrust23THRUST_200600_302600_NS11hip_rocprim26transform_input_iterator_tIS6_NSA_6detail15normal_iteratorINSA_10device_ptrIfEEEE22summary_stats_unary_opIfEEEPS6_S6_23summary_stats_binary_opIfEEE10hipError_tPvRmT1_T2_T3_mT4_P12ihipStream_tbEUlT_E0_NS1_11comp_targetILNS1_3genE9ELNS1_11target_archE1100ELNS1_3gpuE3ELNS1_3repE0EEENS1_30default_config_static_selectorELNS0_4arch9wavefront6targetE0EEEvSR_,"axG",@progbits,_ZN7rocprim17ROCPRIM_400000_NS6detail17trampoline_kernelINS0_14default_configENS1_22reduce_config_selectorI18summary_stats_dataIfEEEZNS1_11reduce_implILb1ES3_N6thrust23THRUST_200600_302600_NS11hip_rocprim26transform_input_iterator_tIS6_NSA_6detail15normal_iteratorINSA_10device_ptrIfEEEE22summary_stats_unary_opIfEEEPS6_S6_23summary_stats_binary_opIfEEE10hipError_tPvRmT1_T2_T3_mT4_P12ihipStream_tbEUlT_E0_NS1_11comp_targetILNS1_3genE9ELNS1_11target_archE1100ELNS1_3gpuE3ELNS1_3repE0EEENS1_30default_config_static_selectorELNS0_4arch9wavefront6targetE0EEEvSR_,comdat
	.protected	_ZN7rocprim17ROCPRIM_400000_NS6detail17trampoline_kernelINS0_14default_configENS1_22reduce_config_selectorI18summary_stats_dataIfEEEZNS1_11reduce_implILb1ES3_N6thrust23THRUST_200600_302600_NS11hip_rocprim26transform_input_iterator_tIS6_NSA_6detail15normal_iteratorINSA_10device_ptrIfEEEE22summary_stats_unary_opIfEEEPS6_S6_23summary_stats_binary_opIfEEE10hipError_tPvRmT1_T2_T3_mT4_P12ihipStream_tbEUlT_E0_NS1_11comp_targetILNS1_3genE9ELNS1_11target_archE1100ELNS1_3gpuE3ELNS1_3repE0EEENS1_30default_config_static_selectorELNS0_4arch9wavefront6targetE0EEEvSR_ ; -- Begin function _ZN7rocprim17ROCPRIM_400000_NS6detail17trampoline_kernelINS0_14default_configENS1_22reduce_config_selectorI18summary_stats_dataIfEEEZNS1_11reduce_implILb1ES3_N6thrust23THRUST_200600_302600_NS11hip_rocprim26transform_input_iterator_tIS6_NSA_6detail15normal_iteratorINSA_10device_ptrIfEEEE22summary_stats_unary_opIfEEEPS6_S6_23summary_stats_binary_opIfEEE10hipError_tPvRmT1_T2_T3_mT4_P12ihipStream_tbEUlT_E0_NS1_11comp_targetILNS1_3genE9ELNS1_11target_archE1100ELNS1_3gpuE3ELNS1_3repE0EEENS1_30default_config_static_selectorELNS0_4arch9wavefront6targetE0EEEvSR_
	.globl	_ZN7rocprim17ROCPRIM_400000_NS6detail17trampoline_kernelINS0_14default_configENS1_22reduce_config_selectorI18summary_stats_dataIfEEEZNS1_11reduce_implILb1ES3_N6thrust23THRUST_200600_302600_NS11hip_rocprim26transform_input_iterator_tIS6_NSA_6detail15normal_iteratorINSA_10device_ptrIfEEEE22summary_stats_unary_opIfEEEPS6_S6_23summary_stats_binary_opIfEEE10hipError_tPvRmT1_T2_T3_mT4_P12ihipStream_tbEUlT_E0_NS1_11comp_targetILNS1_3genE9ELNS1_11target_archE1100ELNS1_3gpuE3ELNS1_3repE0EEENS1_30default_config_static_selectorELNS0_4arch9wavefront6targetE0EEEvSR_
	.p2align	8
	.type	_ZN7rocprim17ROCPRIM_400000_NS6detail17trampoline_kernelINS0_14default_configENS1_22reduce_config_selectorI18summary_stats_dataIfEEEZNS1_11reduce_implILb1ES3_N6thrust23THRUST_200600_302600_NS11hip_rocprim26transform_input_iterator_tIS6_NSA_6detail15normal_iteratorINSA_10device_ptrIfEEEE22summary_stats_unary_opIfEEEPS6_S6_23summary_stats_binary_opIfEEE10hipError_tPvRmT1_T2_T3_mT4_P12ihipStream_tbEUlT_E0_NS1_11comp_targetILNS1_3genE9ELNS1_11target_archE1100ELNS1_3gpuE3ELNS1_3repE0EEENS1_30default_config_static_selectorELNS0_4arch9wavefront6targetE0EEEvSR_,@function
_ZN7rocprim17ROCPRIM_400000_NS6detail17trampoline_kernelINS0_14default_configENS1_22reduce_config_selectorI18summary_stats_dataIfEEEZNS1_11reduce_implILb1ES3_N6thrust23THRUST_200600_302600_NS11hip_rocprim26transform_input_iterator_tIS6_NSA_6detail15normal_iteratorINSA_10device_ptrIfEEEE22summary_stats_unary_opIfEEEPS6_S6_23summary_stats_binary_opIfEEE10hipError_tPvRmT1_T2_T3_mT4_P12ihipStream_tbEUlT_E0_NS1_11comp_targetILNS1_3genE9ELNS1_11target_archE1100ELNS1_3gpuE3ELNS1_3repE0EEENS1_30default_config_static_selectorELNS0_4arch9wavefront6targetE0EEEvSR_: ; @_ZN7rocprim17ROCPRIM_400000_NS6detail17trampoline_kernelINS0_14default_configENS1_22reduce_config_selectorI18summary_stats_dataIfEEEZNS1_11reduce_implILb1ES3_N6thrust23THRUST_200600_302600_NS11hip_rocprim26transform_input_iterator_tIS6_NSA_6detail15normal_iteratorINSA_10device_ptrIfEEEE22summary_stats_unary_opIfEEEPS6_S6_23summary_stats_binary_opIfEEE10hipError_tPvRmT1_T2_T3_mT4_P12ihipStream_tbEUlT_E0_NS1_11comp_targetILNS1_3genE9ELNS1_11target_archE1100ELNS1_3gpuE3ELNS1_3repE0EEENS1_30default_config_static_selectorELNS0_4arch9wavefront6targetE0EEEvSR_
; %bb.0:
	s_mov_b32 s20, s15
	s_clause 0x3
	s_load_b256 s[4:11], s[0:1], 0x10
	s_load_b64 s[2:3], s[0:1], 0x0
	s_load_b64 s[22:23], s[0:1], 0x30
	s_load_b256 s[12:19], s[0:1], 0x38
	s_mov_b32 s25, 0
	v_lshlrev_b32_e32 v2, 2, v0
	v_mbcnt_lo_u32_b32 v1, -1, 0
	s_mov_b32 s21, s25
	s_waitcnt lgkmcnt(0)
	s_lshl_b64 s[0:1], s[4:5], 2
	s_delay_alu instid0(SALU_CYCLE_1) | instskip(SKIP_4) | instid1(SALU_CYCLE_1)
	s_add_u32 s4, s2, s0
	s_addc_u32 s5, s3, s1
	s_lshl_b32 s24, s20, 9
	s_lshr_b64 s[2:3], s[6:7], 9
	s_lshl_b64 s[0:1], s[24:25], 2
	s_add_u32 s19, s4, s0
	s_addc_u32 s25, s5, s1
	s_cmp_lg_u64 s[2:3], s[20:21]
	s_cbranch_scc0 .LBB25_6
; %bb.1:
	v_add_co_u32 v3, s0, s19, v2
	s_delay_alu instid0(VALU_DEP_1)
	v_add_co_ci_u32_e64 v4, null, s25, 0, s0
	s_clause 0x1
	flat_load_b32 v10, v[3:4]
	flat_load_b32 v12, v[3:4] offset:1024
	v_mov_b32_e32 v3, 2.0
	v_mov_b32_e32 v13, 0
	s_delay_alu instid0(VALU_DEP_2) | instskip(NEXT) | instid1(VALU_DEP_1)
	v_mov_b32_dpp v7, v3 quad_perm:[1,0,3,2] row_mask:0xf bank_mask:0xf
	v_add_f32_e32 v3, 2.0, v7
	v_mul_f32_e32 v26, v7, v7
	s_delay_alu instid0(VALU_DEP_2) | instskip(NEXT) | instid1(VALU_DEP_2)
	v_mov_b32_dpp v8, v3 quad_perm:[2,3,0,1] row_mask:0xf bank_mask:0xf
	v_fma_f32 v9, -2.0, v7, v26
	s_delay_alu instid0(VALU_DEP_2) | instskip(NEXT) | instid1(VALU_DEP_2)
	v_dual_add_f32 v28, -2.0, v7 :: v_dual_mul_f32 v29, v8, v8
	v_dual_add_f32 v4, v3, v8 :: v_dual_add_f32 v31, 4.0, v9
	s_delay_alu instid0(VALU_DEP_1) | instskip(NEXT) | instid1(VALU_DEP_1)
	v_mov_b32_dpp v11, v4 row_ror:4 row_mask:0xf bank_mask:0xf
	v_add_f32_e32 v6, v4, v11
	s_delay_alu instid0(VALU_DEP_1) | instskip(NEXT) | instid1(VALU_DEP_1)
	v_mov_b32_dpp v15, v6 row_ror:8 row_mask:0xf bank_mask:0xf
	v_dual_add_f32 v5, v6, v15 :: v_dual_mul_f32 v32, v4, v4
	v_mul_f32_e32 v27, v3, v3
	v_dual_sub_f32 v35, v8, v3 :: v_dual_sub_f32 v38, v11, v4
	ds_swizzle_b32 v14, v5 offset:swizzle(BROADCAST,32,15)
	v_dual_mul_f32 v33, v11, v11 :: v_dual_mul_f32 v36, v4, v32
	v_mul_f32_e32 v30, v3, v27
	v_fma_f32 v34, -v3, v8, v29
	v_mul_f32_e32 v23, v6, v6
	v_sub_f32_e32 v40, v15, v6
	s_delay_alu instid0(VALU_DEP_3) | instskip(NEXT) | instid1(VALU_DEP_3)
	v_fmac_f32_e32 v34, v3, v3
	v_mul_f32_e32 v25, v6, v23
	s_waitcnt lgkmcnt(0)
	v_mul_f32_e32 v20, v14, v14
	v_fma_f32 v37, -v4, v11, v33
	v_mul_f32_e32 v22, v15, v15
	s_delay_alu instid0(VALU_DEP_3) | instskip(NEXT) | instid1(VALU_DEP_3)
	v_fma_f32 v18, -v5, v14, v20
	v_fmac_f32_e32 v37, v4, v4
	s_delay_alu instid0(VALU_DEP_3) | instskip(NEXT) | instid1(VALU_DEP_1)
	v_fma_f32 v39, -v6, v15, v22
	v_dual_fmac_f32 v18, v5, v5 :: v_dual_fmac_f32 v39, v6, v6
	s_waitcnt vmcnt(0)
	v_sub_f32_e32 v41, v12, v10
	v_cmp_lt_f32_e32 vcc_lo, v12, v10
	s_delay_alu instid0(VALU_DEP_2) | instskip(SKIP_3) | instid1(VALU_DEP_4)
	v_dual_add_f32 v9, v5, v14 :: v_dual_mul_f32 v44, 0x40400000, v41
	v_cndmask_b32_e32 v42, v10, v12, vcc_lo
	v_cmp_lt_f32_e32 vcc_lo, v10, v12
	v_mul_f32_e32 v21, v5, v5
	v_mul_f32_e32 v16, v9, v9
	v_dual_mul_f32 v43, v41, v41 :: v_dual_mul_f32 v44, 0, v44
	v_cndmask_b32_e32 v12, v10, v12, vcc_lo
	v_mov_b32_dpp v46, v42 quad_perm:[1,0,3,2] row_mask:0xf bank_mask:0xf
	s_delay_alu instid0(VALU_DEP_3) | instskip(SKIP_1) | instid1(VALU_DEP_4)
	v_dual_mul_f32 v45, 4.0, v41 :: v_dual_mul_f32 v50, 0x40c00000, v43
	v_dual_mul_f32 v17, v9, v16 :: v_dual_fmac_f32 v10, 0.5, v41
	v_mov_b32_dpp v47, v12 quad_perm:[1,0,3,2] row_mask:0xf bank_mask:0xf
	s_delay_alu instid0(VALU_DEP_4) | instskip(NEXT) | instid1(VALU_DEP_4)
	v_cmp_lt_f32_e32 vcc_lo, v42, v46
	v_mul_f32_e32 v45, 0, v45
	v_dual_mul_f32 v24, v5, v21 :: v_dual_mul_f32 v49, 0.5, v43
	v_dual_sub_f32 v19, v14, v5 :: v_dual_mul_f32 v48, v41, v43
	v_cndmask_b32_e32 v42, v46, v42, vcc_lo
	v_cmp_gt_f32_e32 vcc_lo, v12, v47
	v_mov_b32_dpp v51, v10 quad_perm:[1,0,3,2] row_mask:0xf bank_mask:0xf
	s_delay_alu instid0(VALU_DEP_4)
	v_mul_f32_e32 v41, v41, v48
	v_mul_f32_e32 v46, 0, v48
	v_dual_cndmask_b32 v12, v47, v12 :: v_dual_mul_f32 v47, 0, v50
	v_mov_b32_dpp v50, v42 quad_perm:[2,3,0,1] row_mask:0xf bank_mask:0xf
	v_mov_b32_dpp v48, v49 quad_perm:[1,0,3,2] row_mask:0xf bank_mask:0xf
	v_sub_f32_e32 v10, v10, v51
	s_delay_alu instid0(VALU_DEP_4)
	v_mov_b32_dpp v52, v12 quad_perm:[2,3,0,1] row_mask:0xf bank_mask:0xf
	v_fmamk_f32 v41, v41, 0x3e000000, v13
	v_cmp_lt_f32_e32 vcc_lo, v42, v50
	v_fma_f32 v46, 0x3e800000, v46, 0
	v_dual_mul_f32 v53, v10, v10 :: v_dual_add_f32 v56, v48, v48
	v_fma_f32 v43, 0.5, v43, v48
	v_cndmask_b32_e32 v42, v50, v42, vcc_lo
	v_cmp_gt_f32_e32 vcc_lo, v12, v52
	v_mul_f32_e32 v48, 4.0, v48
	v_dual_fmac_f32 v46, 0.5, v44 :: v_dual_fmac_f32 v41, 0x3e800000, v47
	v_fma_f32 v56, v49, v7, -v56
	v_cndmask_b32_e32 v12, v52, v12, vcc_lo
	v_mul_f32_e32 v44, v10, v53
	v_dual_mul_f32 v52, v53, v7 :: v_dual_mul_f32 v53, 0x40c00000, v53
	v_add_f32_e32 v54, v10, v10
	v_mul_f32_e32 v55, 0x40400000, v10
	v_dual_fmac_f32 v48, v49, v26 :: v_dual_fmac_f32 v41, 0.5, v45
	v_mov_b32_dpp v26, v42 row_ror:4 row_mask:0xf bank_mask:0xf
	s_delay_alu instid0(VALU_DEP_4) | instskip(SKIP_1) | instid1(VALU_DEP_3)
	v_div_scale_f32 v47, null, v3, v3, v54
	v_div_scale_f32 v50, vcc_lo, v54, v3, v54
	v_cmp_lt_f32_e64 s0, v42, v26
	s_delay_alu instid0(VALU_DEP_3) | instskip(SKIP_2) | instid1(VALU_DEP_3)
	v_rcp_f32_e32 v58, v47
	v_mul_f32_e32 v55, v55, v56
	v_dual_mul_f32 v57, 4.0, v10 :: v_dual_mul_f32 v10, v10, v44
	v_cndmask_b32_e64 v26, v26, v42, s0
	v_mov_b32_dpp v42, v41 quad_perm:[1,0,3,2] row_mask:0xf bank_mask:0xf
	s_delay_alu instid0(VALU_DEP_4) | instskip(NEXT) | instid1(VALU_DEP_4)
	v_div_scale_f32 v59, null, v3, v3, v55
	v_mul_f32_e32 v10, v10, v7
	s_delay_alu instid0(VALU_DEP_4) | instskip(NEXT) | instid1(TRANS32_DEP_1)
	v_mov_b32_dpp v63, v26 row_ror:8 row_mask:0xf bank_mask:0xf
	v_fma_f32 v65, -v47, v58, 1.0
	v_add_f32_e32 v41, v41, v42
	v_mov_b32_dpp v45, v46 quad_perm:[1,0,3,2] row_mask:0xf bank_mask:0xf
	v_add_f32_e32 v10, v10, v10
	v_cmp_lt_f32_e64 s3, v26, v63
	v_fmac_f32_e32 v58, v65, v58
	v_mul_f32_e32 v44, v44, v7
	v_div_scale_f32 v60, s1, v55, v3, v55
	s_delay_alu instid0(VALU_DEP_4) | instskip(NEXT) | instid1(VALU_DEP_3)
	v_cndmask_b32_e64 v26, v63, v26, s3
	v_dual_mul_f32 v63, v50, v58 :: v_dual_add_f32 v44, v44, v44
	v_mul_f32_e32 v31, v31, v10
	s_delay_alu instid0(VALU_DEP_2)
	v_fma_f32 v73, -v47, v63, v50
	v_add_f32_e32 v56, v46, v45
	v_add_f32_e32 v45, v45, v45
	v_mov_b32_dpp v49, v12 row_ror:4 row_mask:0xf bank_mask:0xf
	v_div_scale_f32 v68, null, v30, v30, v31
	v_fmac_f32_e32 v63, v73, v58
	s_delay_alu instid0(VALU_DEP_4) | instskip(SKIP_3) | instid1(VALU_DEP_4)
	v_fma_f32 v45, v46, v7, -v45
	v_add_f32_e32 v52, v52, v52
	v_cmp_gt_f32_e64 s0, v12, v49
	v_div_scale_f32 v69, s4, v31, v30, v31
	v_mul_f32_e32 v45, v57, v45
	v_fma_f32 v47, -v47, v63, v50
	s_delay_alu instid0(VALU_DEP_4) | instskip(SKIP_1) | instid1(VALU_DEP_4)
	v_cndmask_b32_e64 v12, v49, v12, s0
	v_div_scale_f32 v49, null, v3, v3, v52
	v_div_scale_f32 v71, null, v3, v3, v45
	s_delay_alu instid0(VALU_DEP_4) | instskip(NEXT) | instid1(VALU_DEP_4)
	v_div_fmas_f32 v47, v47, v58, v63
	v_mov_b32_dpp v64, v12 row_ror:8 row_mask:0xf bank_mask:0xf
	s_delay_alu instid0(VALU_DEP_4) | instskip(SKIP_1) | instid1(VALU_DEP_3)
	v_rcp_f32_e32 v66, v49
	v_div_scale_f32 v72, s5, v45, v3, v45
	v_div_fixup_f32 v47, v47, v3, v54
	v_mul_f32_e32 v28, v28, v44
	v_rcp_f32_e32 v44, v59
	v_cmp_gt_f32_e64 s3, v12, v64
	ds_swizzle_b32 v57, v26 offset:swizzle(BROADCAST,32,15)
	v_add_f32_e32 v47, v47, v51
	v_cndmask_b32_e64 v7, v64, v12, s3
	v_div_scale_f32 v12, null, v27, v27, v28
	v_fma_f32 v64, -v49, v66, 1.0
	v_fma_f32 v67, -v59, v44, 1.0
	v_div_scale_f32 v46, s3, v28, v27, v28
	s_delay_alu instid0(VALU_DEP_4) | instskip(NEXT) | instid1(VALU_DEP_3)
	v_rcp_f32_e32 v65, v12
	v_fmac_f32_e32 v66, v64, v66
	s_delay_alu instid0(VALU_DEP_3)
	v_fmac_f32_e32 v44, v67, v44
	v_rcp_f32_e32 v67, v71
	v_rcp_f32_e32 v64, v68
	ds_swizzle_b32 v10, v7 offset:swizzle(BROADCAST,32,15)
	v_fma_f32 v73, -v12, v65, 1.0
	v_fma_f32 v78, -v71, v67, 1.0
	;; [unrolled: 1-line block ×3, first 2 shown]
	s_delay_alu instid0(VALU_DEP_3) | instskip(NEXT) | instid1(VALU_DEP_3)
	v_fmac_f32_e32 v65, v73, v65
	v_dual_fmac_f32 v67, v78, v67 :: v_dual_mul_f32 v48, v53, v48
	v_div_scale_f32 v53, s0, v52, v3, v52
	s_delay_alu instid0(VALU_DEP_4) | instskip(SKIP_1) | instid1(VALU_DEP_3)
	v_fmac_f32_e32 v64, v76, v64
	s_mov_b32 vcc_lo, s0
	v_div_scale_f32 v61, null, v27, v27, v48
	v_div_scale_f32 v62, s2, v48, v27, v48
	s_delay_alu instid0(VALU_DEP_3) | instskip(NEXT) | instid1(VALU_DEP_3)
	v_mul_f32_e32 v58, v69, v64
	v_rcp_f32_e32 v42, v61
	s_waitcnt_depctr 0xfff
	v_fma_f32 v70, -v61, v42, 1.0
	s_delay_alu instid0(VALU_DEP_1) | instskip(SKIP_1) | instid1(VALU_DEP_2)
	v_fmac_f32_e32 v42, v70, v42
	v_mul_f32_e32 v70, v53, v66
	v_mul_f32_e32 v75, v62, v42
	s_delay_alu instid0(VALU_DEP_2) | instskip(NEXT) | instid1(VALU_DEP_2)
	v_fma_f32 v50, -v49, v70, v53
	v_fma_f32 v77, -v61, v75, v62
	s_delay_alu instid0(VALU_DEP_2) | instskip(NEXT) | instid1(VALU_DEP_2)
	v_fmac_f32_e32 v70, v50, v66
	v_dual_mul_f32 v50, v46, v65 :: v_dual_fmac_f32 v75, v77, v42
	s_delay_alu instid0(VALU_DEP_2) | instskip(NEXT) | instid1(VALU_DEP_2)
	v_fma_f32 v49, -v49, v70, v53
	v_fma_f32 v53, -v12, v50, v46
	s_delay_alu instid0(VALU_DEP_1) | instskip(SKIP_1) | instid1(VALU_DEP_2)
	v_fmac_f32_e32 v50, v53, v65
	v_fma_f32 v53, -v68, v58, v69
	v_fma_f32 v12, -v12, v50, v46
	v_mov_b32_dpp v46, v47 quad_perm:[2,3,0,1] row_mask:0xf bank_mask:0xf
	v_mul_f32_e32 v74, v60, v44
	s_delay_alu instid0(VALU_DEP_2) | instskip(NEXT) | instid1(VALU_DEP_2)
	v_dual_fmac_f32 v58, v53, v64 :: v_dual_sub_f32 v47, v47, v46
	v_fma_f32 v73, -v59, v74, v60
	s_delay_alu instid0(VALU_DEP_2) | instskip(SKIP_1) | instid1(VALU_DEP_3)
	v_mul_f32_e32 v53, 0x40400000, v47
	v_div_fmas_f32 v49, v49, v66, v70
	v_fmac_f32_e32 v74, v73, v44
	s_mov_b32 vcc_lo, s3
	v_mul_f32_e32 v51, v47, v47
	v_div_fmas_f32 v12, v12, v65, v50
	v_div_fixup_f32 v49, v49, v3, v52
	v_fma_f32 v54, -v59, v74, v60
	s_mov_b32 vcc_lo, s1
	v_fma_f32 v59, -v61, v75, v62
	v_div_fixup_f32 v12, v12, v27, v28
	v_add_f32_e32 v43, v43, v49
	v_fma_f32 v49, -v68, v58, v69
	v_div_fmas_f32 v44, v54, v44, v74
	s_mov_b32 vcc_lo, s4
	v_add_f32_e32 v12, v56, v12
	s_delay_alu instid0(VALU_DEP_3)
	v_div_fmas_f32 v28, v49, v64, v58
	s_mov_b32 vcc_lo, s2
	v_mov_b32_dpp v49, v43 quad_perm:[2,3,0,1] row_mask:0xf bank_mask:0xf
	v_div_fmas_f32 v42, v59, v42, v75
	v_div_fixup_f32 v44, v44, v3, v55
	v_div_fixup_f32 v28, v28, v30, v31
	v_mul_f32_e32 v30, v47, v51
	v_add_f32_e32 v56, v43, v49
	v_mul_f32_e32 v59, v3, v49
	v_mul_f32_e32 v49, v27, v49
	v_div_fixup_f32 v27, v42, v27, v48
	v_add_f32_e32 v28, v41, v28
	v_dual_mul_f32 v60, v72, v67 :: v_dual_mul_f32 v41, v47, v30
	v_mul_f32_e32 v52, v3, v47
	s_mov_b32 vcc_lo, s5
	s_delay_alu instid0(VALU_DEP_3) | instskip(NEXT) | instid1(VALU_DEP_3)
	v_add_f32_e32 v27, v27, v28
	v_fma_f32 v61, -v71, v60, v72
	v_mul_f32_e32 v41, v41, v8
	v_div_scale_f32 v31, null, v4, v4, v52
	v_add_f32_e32 v12, v44, v12
	s_delay_alu instid0(VALU_DEP_4) | instskip(SKIP_1) | instid1(VALU_DEP_4)
	v_fmac_f32_e32 v60, v61, v67
	v_mul_f32_e32 v30, v30, v8
	v_rcp_f32_e32 v44, v31
	v_dual_mul_f32 v58, v51, v8 :: v_dual_mul_f32 v51, 0x40c00000, v51
	s_delay_alu instid0(VALU_DEP_3) | instskip(NEXT) | instid1(VALU_DEP_3)
	v_fma_f32 v50, -v71, v60, v72
	v_dual_mul_f32 v30, v3, v30 :: v_dual_fmac_f32 v49, v29, v43
	v_mul_f32_e32 v41, v3, v41
	s_delay_alu instid0(VALU_DEP_3) | instskip(NEXT) | instid1(VALU_DEP_3)
	v_div_fmas_f32 v50, v50, v67, v60
	v_mul_f32_e32 v30, v35, v30
	s_delay_alu instid0(VALU_DEP_4) | instskip(SKIP_1) | instid1(VALU_DEP_4)
	v_mul_f32_e32 v48, v51, v49
	v_div_scale_f32 v55, vcc_lo, v52, v4, v52
	v_div_fixup_f32 v42, v50, v3, v45
	v_dual_mul_f32 v45, v3, v58 :: v_dual_mul_f32 v34, v34, v41
	s_delay_alu instid0(VALU_DEP_4) | instskip(NEXT) | instid1(VALU_DEP_3)
	v_div_scale_f32 v58, s2, v48, v32, v48
	v_add_f32_e32 v27, v42, v27
	v_fma_f32 v42, -v31, v44, 1.0
	s_delay_alu instid0(VALU_DEP_4) | instskip(SKIP_1) | instid1(VALU_DEP_3)
	v_div_scale_f32 v29, null, v4, v4, v45
	v_div_scale_f32 v62, s4, v34, v36, v34
	v_fmac_f32_e32 v44, v42, v44
	v_div_scale_f32 v42, null, v32, v32, v30
	s_delay_alu instid0(VALU_DEP_4) | instskip(NEXT) | instid1(VALU_DEP_1)
	v_rcp_f32_e32 v49, v29
	v_rcp_f32_e32 v61, v42
	s_waitcnt_depctr 0xfff
	v_fma_f32 v67, -v42, v61, 1.0
	s_delay_alu instid0(VALU_DEP_1) | instskip(SKIP_1) | instid1(VALU_DEP_1)
	v_fmac_f32_e32 v61, v67, v61
	v_mov_b32_dpp v28, v12 quad_perm:[2,3,0,1] row_mask:0xf bank_mask:0xf
	v_mul_f32_e32 v3, v3, v28
	v_add_f32_e32 v50, v12, v28
	v_mov_b32_dpp v28, v27 quad_perm:[2,3,0,1] row_mask:0xf bank_mask:0xf
	s_delay_alu instid0(VALU_DEP_3)
	v_fma_f32 v3, v12, v8, -v3
	v_fma_f32 v12, -v29, v49, 1.0
	v_mul_f32_e32 v54, 4.0, v47
	v_fma_f32 v47, v43, v8, -v59
	v_mul_f32_e32 v8, v55, v44
	v_div_scale_f32 v43, s0, v45, v4, v45
	v_add_f32_e32 v27, v27, v28
	s_delay_alu instid0(VALU_DEP_4) | instskip(SKIP_2) | instid1(VALU_DEP_3)
	v_mul_f32_e32 v47, v53, v47
	v_div_scale_f32 v53, null, v32, v32, v48
	v_div_scale_f32 v28, null, v36, v36, v34
	;; [unrolled: 1-line block ×3, first 2 shown]
	s_delay_alu instid0(VALU_DEP_3) | instskip(SKIP_2) | instid1(VALU_DEP_3)
	v_rcp_f32_e32 v41, v53
	v_fmac_f32_e32 v49, v12, v49
	v_mul_f32_e32 v3, v54, v3
	v_rcp_f32_e32 v60, v35
	v_fma_f32 v54, -v31, v8, v55
	v_rcp_f32_e32 v63, v28
	v_div_scale_f32 v51, s1, v47, v4, v47
	v_div_scale_f32 v65, null, v4, v4, v3
	s_delay_alu instid0(VALU_DEP_3) | instskip(SKIP_2) | instid1(TRANS32_DEP_2)
	v_fmac_f32_e32 v8, v54, v44
	v_mul_f32_e32 v54, v43, v49
	v_fma_f32 v64, -v53, v41, 1.0
	v_fma_f32 v12, -v35, v60, 1.0
	v_div_scale_f32 v59, s3, v30, v32, v30
	v_fma_f32 v31, -v31, v8, v55
	v_fma_f32 v55, -v29, v54, v43
	s_delay_alu instid0(VALU_DEP_4)
	v_fmac_f32_e32 v60, v12, v60
	v_rcp_f32_e32 v12, v65
	v_fmac_f32_e32 v41, v64, v41
	v_fma_f32 v67, -v28, v63, 1.0
	v_div_fmas_f32 v8, v31, v44, v8
	v_mul_f32_e32 v64, v51, v60
	v_fmac_f32_e32 v54, v55, v49
	v_mul_f32_e32 v31, v59, v61
	v_fmac_f32_e32 v63, v67, v63
	v_div_fixup_f32 v8, v8, v4, v52
	v_fma_f32 v44, -v35, v64, v51
	v_fma_f32 v67, -v65, v12, 1.0
	v_fma_f32 v29, -v29, v54, v43
	s_mov_b32 vcc_lo, s0
	v_div_scale_f32 v66, s5, v3, v4, v3
	v_fma_f32 v43, -v42, v31, v59
	v_fmac_f32_e32 v64, v44, v60
	v_mul_f32_e32 v44, v62, v63
	v_fmac_f32_e32 v12, v67, v12
	v_add_f32_e32 v8, v8, v46
	v_div_fmas_f32 v29, v29, v49, v54
	v_mul_f32_e32 v68, v58, v41
	v_fmac_f32_e32 v31, v43, v61
	v_fma_f32 v43, -v28, v44, v62
	v_mul_f32_e32 v46, v66, v12
	v_div_fixup_f32 v29, v29, v4, v45
	v_mov_b32_dpp v45, v8 row_ror:4 row_mask:0xf bank_mask:0xf
	v_fma_f32 v55, -v53, v68, v58
	v_fma_f32 v42, -v42, v31, v59
	v_fmac_f32_e32 v44, v43, v63
	v_fma_f32 v43, -v65, v46, v66
	v_sub_f32_e32 v8, v8, v45
	v_fmac_f32_e32 v68, v55, v41
	s_mov_b32 vcc_lo, s3
	v_fma_f32 v35, -v35, v64, v51
	v_div_fmas_f32 v31, v42, v61, v31
	v_fmac_f32_e32 v46, v43, v12
	v_mul_f32_e32 v43, v8, v8
	v_add_f32_e32 v29, v56, v29
	v_fma_f32 v28, -v28, v44, v62
	s_mov_b32 vcc_lo, s1
	v_fma_f32 v49, -v53, v68, v58
	v_div_fmas_f32 v35, v35, v60, v64
	s_mov_b32 vcc_lo, s4
	v_div_fixup_f32 v30, v31, v32, v30
	v_fma_f32 v31, -v65, v46, v66
	v_mov_b32_dpp v42, v29 row_ror:4 row_mask:0xf bank_mask:0xf
	v_div_fmas_f32 v28, v28, v63, v44
	s_mov_b32 vcc_lo, s2
	v_div_fixup_f32 v35, v35, v4, v47
	v_div_fmas_f32 v41, v49, v41, v68
	s_mov_b32 vcc_lo, s5
	v_mul_f32_e32 v49, v4, v42
	v_div_fmas_f32 v12, v31, v12, v46
	v_add_f32_e32 v46, v29, v42
	v_mul_f32_e32 v42, v32, v42
	v_mul_f32_e32 v31, v8, v43
	v_mul_f32_e32 v47, v43, v11
	v_dual_mul_f32 v43, 0x40c00000, v43 :: v_dual_add_f32 v30, v50, v30
	s_delay_alu instid0(VALU_DEP_4)
	v_fmac_f32_e32 v42, v33, v29
	v_div_fixup_f32 v32, v41, v32, v48
	v_mul_f32_e32 v51, 0x40400000, v8
	v_mul_f32_e32 v52, 4.0, v8
	v_add_f32_e32 v30, v35, v30
	v_mul_f32_e32 v41, v43, v42
	v_fma_f32 v35, v29, v11, -v49
	v_div_fixup_f32 v28, v28, v36, v34
	v_div_fixup_f32 v3, v12, v4, v3
	v_mov_b32_dpp v29, v30 row_ror:4 row_mask:0xf bank_mask:0xf
	v_div_scale_f32 v49, s2, v41, v23, v41
	v_mul_f32_e32 v44, v4, v8
	v_mul_f32_e32 v8, v8, v31
	v_div_scale_f32 v48, null, v23, v23, v41
	v_add_f32_e32 v27, v27, v28
	v_mul_f32_e32 v31, v31, v11
	s_delay_alu instid0(VALU_DEP_4) | instskip(SKIP_1) | instid1(VALU_DEP_4)
	v_mul_f32_e32 v8, v8, v11
	v_dual_mul_f32 v28, v4, v47 :: v_dual_add_f32 v43, v30, v29
	v_add_f32_e32 v27, v32, v27
	s_delay_alu instid0(VALU_DEP_4) | instskip(NEXT) | instid1(VALU_DEP_4)
	v_mul_f32_e32 v31, v4, v31
	v_mul_f32_e32 v8, v4, v8
	;; [unrolled: 1-line block ×3, first 2 shown]
	v_div_scale_f32 v32, null, v6, v6, v28
	s_delay_alu instid0(VALU_DEP_3) | instskip(SKIP_3) | instid1(VALU_DEP_3)
	v_dual_add_f32 v3, v3, v27 :: v_dual_mul_f32 v8, v37, v8
	v_rcp_f32_e32 v37, v48
	v_mul_f32_e32 v31, v38, v31
	v_mul_f32_e32 v35, v51, v35
	v_mov_b32_dpp v29, v3 row_ror:4 row_mask:0xf bank_mask:0xf
	v_rcp_f32_e32 v42, v32
	v_fma_f32 v4, v30, v11, -v4
	v_div_scale_f32 v33, s0, v28, v6, v28
	s_delay_alu instid0(VALU_DEP_3) | instskip(SKIP_1) | instid1(TRANS32_DEP_2)
	v_add_f32_e32 v3, v3, v29
	v_div_scale_f32 v29, null, v25, v25, v8
	v_fma_f32 v56, -v48, v37, 1.0
	v_div_scale_f32 v38, null, v6, v6, v35
	s_delay_alu instid0(VALU_DEP_3) | instskip(NEXT) | instid1(TRANS32_DEP_2)
	v_rcp_f32_e32 v55, v29
	v_fma_f32 v30, -v32, v42, 1.0
	s_delay_alu instid0(VALU_DEP_3) | instskip(NEXT) | instid1(VALU_DEP_3)
	v_fmac_f32_e32 v37, v56, v37
	v_rcp_f32_e32 v51, v38
	v_div_scale_f32 v47, s1, v35, v6, v35
	s_delay_alu instid0(VALU_DEP_2) | instskip(SKIP_3) | instid1(VALU_DEP_3)
	v_dual_fmac_f32 v42, v30, v42 :: v_dual_mul_f32 v61, v49, v37
	v_div_scale_f32 v34, null, v6, v6, v44
	v_div_scale_f32 v36, vcc_lo, v44, v6, v44
	v_div_scale_f32 v50, s3, v31, v23, v31
	v_rcp_f32_e32 v12, v34
	s_delay_alu instid0(TRANS32_DEP_2) | instskip(SKIP_1) | instid1(VALU_DEP_2)
	v_fma_f32 v30, -v38, v51, 1.0
	v_div_scale_f32 v54, s4, v8, v25, v8
	v_fmac_f32_e32 v51, v30, v51
	s_waitcnt_depctr 0xfff
	v_fma_f32 v27, -v34, v12, 1.0
	v_mul_f32_e32 v56, v47, v51
	s_delay_alu instid0(VALU_DEP_2) | instskip(SKIP_1) | instid1(VALU_DEP_2)
	v_fmac_f32_e32 v12, v27, v12
	v_div_scale_f32 v27, null, v23, v23, v31
	v_mul_f32_e32 v11, v36, v12
	s_delay_alu instid0(VALU_DEP_2) | instskip(SKIP_2) | instid1(VALU_DEP_1)
	v_rcp_f32_e32 v53, v27
	s_waitcnt_depctr 0xfff
	v_fma_f32 v60, -v27, v53, 1.0
	v_fmac_f32_e32 v53, v60, v53
	v_fma_f32 v60, -v29, v55, 1.0
	s_delay_alu instid0(VALU_DEP_1) | instskip(SKIP_2) | instid1(VALU_DEP_2)
	v_fmac_f32_e32 v55, v60, v55
	v_mul_f32_e32 v4, v52, v4
	v_fma_f32 v52, -v34, v11, v36
	v_div_scale_f32 v58, null, v6, v6, v4
	s_delay_alu instid0(VALU_DEP_2) | instskip(SKIP_1) | instid1(VALU_DEP_3)
	v_dual_fmac_f32 v11, v52, v12 :: v_dual_mul_f32 v52, v33, v42
	v_div_scale_f32 v59, s5, v4, v6, v4
	v_rcp_f32_e32 v30, v58
	s_delay_alu instid0(VALU_DEP_2) | instskip(NEXT) | instid1(VALU_DEP_3)
	v_fma_f32 v34, -v34, v11, v36
	v_fma_f32 v36, -v32, v52, v33
	s_delay_alu instid0(VALU_DEP_2) | instskip(NEXT) | instid1(VALU_DEP_2)
	v_div_fmas_f32 v11, v34, v12, v11
	v_fmac_f32_e32 v52, v36, v42
	v_mul_f32_e32 v12, v50, v53
	v_fma_f32 v34, -v38, v56, v47
	v_fma_f32 v36, -v48, v61, v49
	s_delay_alu instid0(TRANS32_DEP_1)
	v_fma_f32 v60, -v58, v30, 1.0
	v_fma_f32 v32, -v32, v52, v33
	v_fma_f32 v33, -v27, v12, v50
	v_fmac_f32_e32 v56, v34, v51
	v_mul_f32_e32 v34, v54, v55
	v_div_fixup_f32 v11, v11, v6, v44
	v_fmac_f32_e32 v61, v36, v37
	v_fmac_f32_e32 v30, v60, v30
	;; [unrolled: 1-line block ×3, first 2 shown]
	v_fma_f32 v36, -v29, v34, v54
	s_mov_b32 vcc_lo, s0
	v_add_f32_e32 v11, v11, v45
	v_div_fmas_f32 v32, v32, v42, v52
	v_fma_f32 v33, -v38, v56, v47
	v_mul_f32_e32 v38, v59, v30
	v_fma_f32 v27, -v27, v12, v50
	v_fmac_f32_e32 v34, v36, v55
	s_mov_b32 vcc_lo, s3
	v_div_fixup_f32 v28, v32, v6, v28
	v_fma_f32 v32, -v58, v38, v59
	v_mov_b32_dpp v36, v11 row_ror:8 row_mask:0xf bank_mask:0xf
	v_div_fmas_f32 v12, v27, v53, v12
	v_fma_f32 v27, -v29, v34, v54
	s_mov_b32 vcc_lo, s1
	v_fma_f32 v42, -v48, v61, v49
	v_div_fmas_f32 v29, v33, v51, v56
	s_mov_b32 vcc_lo, s4
	v_add_f32_e32 v28, v46, v28
	v_dual_fmac_f32 v38, v32, v30 :: v_dual_sub_f32 v11, v11, v36
	v_div_fmas_f32 v27, v27, v55, v34
	s_mov_b32 vcc_lo, s2
	v_div_fixup_f32 v12, v12, v23, v31
	s_delay_alu instid0(VALU_DEP_3)
	v_fma_f32 v31, -v58, v38, v59
	v_mov_b32_dpp v32, v28 row_ror:8 row_mask:0xf bank_mask:0xf
	v_mul_f32_e32 v33, v11, v11
	v_div_fixup_f32 v29, v29, v6, v35
	v_div_fmas_f32 v35, v42, v37, v61
	v_div_fixup_f32 v8, v27, v25, v8
	s_mov_b32 vcc_lo, s5
	v_add_f32_e32 v12, v43, v12
	v_div_fmas_f32 v25, v31, v30, v38
	v_mul_f32_e32 v27, v11, v33
	v_add_f32_e32 v37, v28, v32
	v_mul_f32_e32 v42, v6, v32
	v_mul_f32_e32 v32, v23, v32
	v_div_fixup_f32 v23, v35, v23, v41
	v_add_f32_e32 v3, v3, v8
	v_add_f32_e32 v12, v29, v12
	v_div_fixup_f32 v4, v25, v6, v4
	v_mul_f32_e32 v8, v11, v27
	v_mul_f32_e32 v34, v6, v11
	v_add_f32_e32 v3, v23, v3
	v_mul_f32_e32 v38, v33, v15
	v_dual_mul_f32 v27, v27, v15 :: v_dual_fmac_f32 v32, v22, v28
	v_mov_b32_dpp v22, v12 row_ror:8 row_mask:0xf bank_mask:0xf
	v_mul_f32_e32 v8, v8, v15
	v_add_f32_e32 v3, v4, v3
	v_div_scale_f32 v30, null, v5, v5, v34
	v_mul_f32_e32 v25, v6, v38
	v_mul_f32_e32 v27, v6, v27
	v_dual_add_f32 v35, v12, v22 :: v_dual_mul_f32 v8, v6, v8
	v_mul_f32_e32 v6, v6, v22
	v_mov_b32_dpp v22, v3 row_ror:8 row_mask:0xf bank_mask:0xf
	v_mul_f32_e32 v45, 4.0, v11
	v_mul_f32_e32 v33, 0x40c00000, v33
	v_div_scale_f32 v23, null, v5, v5, v25
	s_delay_alu instid0(VALU_DEP_4) | instskip(SKIP_1) | instid1(VALU_DEP_3)
	v_dual_add_f32 v3, v3, v22 :: v_dual_mul_f32 v44, 0x40400000, v11
	v_rcp_f32_e32 v11, v30
	v_mul_f32_e32 v32, v33, v32
	s_delay_alu instid0(VALU_DEP_3)
	v_rcp_f32_e32 v33, v23
	v_div_scale_f32 v31, vcc_lo, v34, v5, v34
	v_fma_f32 v29, v28, v15, -v42
	v_fma_f32 v6, v12, v15, -v6
	v_div_scale_f32 v28, s0, v25, v5, v25
	v_mul_f32_e32 v27, v40, v27
	s_delay_alu instid0(TRANS32_DEP_2) | instskip(NEXT) | instid1(VALU_DEP_4)
	v_fma_f32 v4, -v30, v11, 1.0
	v_mul_f32_e32 v6, v45, v6
	s_delay_alu instid0(TRANS32_DEP_1) | instskip(SKIP_3) | instid1(VALU_DEP_4)
	v_fma_f32 v15, -v23, v33, 1.0
	v_mul_f32_e32 v29, v44, v29
	v_div_scale_f32 v41, null, v21, v21, v32
	v_fmac_f32_e32 v11, v4, v11
	v_fmac_f32_e32 v33, v15, v33
	s_delay_alu instid0(VALU_DEP_4) | instskip(SKIP_1) | instid1(VALU_DEP_4)
	v_div_scale_f32 v38, null, v5, v5, v29
	v_div_scale_f32 v4, null, v21, v21, v27
	v_mul_f32_e32 v12, v31, v11
	s_delay_alu instid0(VALU_DEP_3) | instskip(SKIP_1) | instid1(VALU_DEP_3)
	v_rcp_f32_e32 v44, v38
	v_div_scale_f32 v40, s1, v29, v5, v29
	v_rcp_f32_e32 v46, v4
	s_delay_alu instid0(VALU_DEP_2) | instskip(SKIP_2) | instid1(VALU_DEP_3)
	v_fma_f32 v45, -v30, v12, v31
	v_div_scale_f32 v50, null, v5, v5, v6
	v_div_scale_f32 v42, s2, v32, v21, v32
	v_dual_fmac_f32 v12, v45, v11 :: v_dual_mul_f32 v45, v28, v33
	s_delay_alu instid0(TRANS32_DEP_2) | instskip(SKIP_1) | instid1(VALU_DEP_3)
	v_fma_f32 v15, -v38, v44, 1.0
	v_div_scale_f32 v43, s3, v27, v21, v27
	v_fma_f32 v30, -v30, v12, v31
	s_delay_alu instid0(VALU_DEP_4) | instskip(NEXT) | instid1(TRANS32_DEP_1)
	v_fma_f32 v31, -v23, v45, v28
	v_fma_f32 v52, -v4, v46, 1.0
	v_fmac_f32_e32 v44, v15, v44
	v_rcp_f32_e32 v15, v50
	v_div_fmas_f32 v11, v30, v11, v12
	v_fmac_f32_e32 v45, v31, v33
	s_mov_b32 vcc_lo, s0
	v_fmac_f32_e32 v46, v52, v46
	v_div_scale_f32 v51, s5, v6, v5, v6
	s_delay_alu instid0(VALU_DEP_3) | instskip(SKIP_1) | instid1(VALU_DEP_4)
	v_fma_f32 v23, -v23, v45, v28
	v_div_fixup_f32 v11, v11, v5, v34
	v_mul_f32_e32 v12, v43, v46
	s_delay_alu instid0(VALU_DEP_3) | instskip(SKIP_1) | instid1(VALU_DEP_2)
	v_div_fmas_f32 v23, v23, v33, v45
	s_mov_b32 vcc_lo, s3
	v_fma_f32 v28, -v4, v12, v43
	v_add_f32_e32 v11, v11, v36
	s_delay_alu instid0(VALU_DEP_3) | instskip(NEXT) | instid1(VALU_DEP_1)
	v_div_fixup_f32 v23, v23, v5, v25
	v_dual_add_f32 v23, v37, v23 :: v_dual_mul_f32 v8, v39, v8
	v_rcp_f32_e32 v39, v41
	v_fmac_f32_e32 v12, v28, v46
	s_delay_alu instid0(VALU_DEP_2) | instskip(SKIP_1) | instid1(VALU_DEP_3)
	v_div_scale_f32 v22, null, v24, v24, v8
	v_div_scale_f32 v47, s4, v8, v24, v8
	v_fma_f32 v4, -v4, v12, v43
	s_delay_alu instid0(VALU_DEP_3) | instskip(SKIP_4) | instid1(VALU_DEP_2)
	v_rcp_f32_e32 v48, v22
	s_waitcnt_depctr 0xfff
	v_fma_f32 v49, -v41, v39, 1.0
	v_div_fmas_f32 v4, v4, v46, v12
	s_mov_b32 vcc_lo, s1
	v_fmac_f32_e32 v39, v49, v39
	v_mul_f32_e32 v49, v40, v44
	s_delay_alu instid0(VALU_DEP_3) | instskip(SKIP_1) | instid1(VALU_DEP_4)
	v_div_fixup_f32 v4, v4, v21, v27
	v_fma_f32 v52, -v22, v48, 1.0
	v_mul_f32_e32 v53, v42, v39
	s_delay_alu instid0(VALU_DEP_4)
	v_fma_f32 v30, -v38, v49, v40
	ds_swizzle_b32 v27, v23 offset:swizzle(BROADCAST,32,15)
	v_add_f32_e32 v4, v35, v4
	v_fmac_f32_e32 v48, v52, v48
	v_fma_f32 v31, -v41, v53, v42
	v_fma_f32 v52, -v50, v15, 1.0
	v_fmac_f32_e32 v49, v30, v44
	s_delay_alu instid0(VALU_DEP_4) | instskip(NEXT) | instid1(VALU_DEP_4)
	v_mul_f32_e32 v30, v47, v48
	v_fmac_f32_e32 v53, v31, v39
	s_delay_alu instid0(VALU_DEP_4) | instskip(NEXT) | instid1(VALU_DEP_4)
	v_fmac_f32_e32 v15, v52, v15
	v_fma_f32 v28, -v38, v49, v40
	s_delay_alu instid0(VALU_DEP_4) | instskip(NEXT) | instid1(VALU_DEP_4)
	v_fma_f32 v31, -v22, v30, v47
	v_fma_f32 v34, -v41, v53, v42
	s_delay_alu instid0(VALU_DEP_4) | instskip(NEXT) | instid1(VALU_DEP_3)
	v_mul_f32_e32 v33, v51, v15
	v_fmac_f32_e32 v30, v31, v48
	ds_swizzle_b32 v31, v11 offset:swizzle(BROADCAST,32,15)
	v_fma_f32 v25, -v50, v33, v51
	v_fma_f32 v12, -v22, v30, v47
	v_div_fmas_f32 v22, v28, v44, v49
	s_mov_b32 vcc_lo, s4
	s_delay_alu instid0(VALU_DEP_3) | instskip(NEXT) | instid1(VALU_DEP_3)
	v_fmac_f32_e32 v33, v25, v15
	v_div_fmas_f32 v12, v12, v48, v30
	s_mov_b32 vcc_lo, s2
	v_div_fixup_f32 v22, v22, v5, v29
	s_delay_alu instid0(VALU_DEP_3)
	v_fma_f32 v25, -v50, v33, v51
	v_div_fmas_f32 v28, v34, v39, v53
	v_div_fixup_f32 v8, v12, v24, v8
	s_mov_b32 vcc_lo, s5
	s_waitcnt lgkmcnt(1)
	v_mul_f32_e32 v29, v5, v27
	v_div_fmas_f32 v12, v25, v15, v33
	v_div_fixup_f32 v15, v28, v21, v32
	v_add_f32_e32 v3, v3, v8
	s_waitcnt lgkmcnt(0)
	v_sub_f32_e32 v8, v11, v31
	v_mul_f32_e32 v21, v21, v27
	v_div_fixup_f32 v6, v12, v5, v6
	v_cmp_lt_f32_e32 vcc_lo, v26, v57
	s_delay_alu instid0(VALU_DEP_4) | instskip(NEXT) | instid1(VALU_DEP_4)
	v_dual_add_f32 v3, v15, v3 :: v_dual_mul_f32 v12, v8, v8
	v_dual_fmac_f32 v21, v20, v23 :: v_dual_mul_f32 v24, 0x40400000, v8
	v_fma_f32 v29, v23, v14, -v29
	s_delay_alu instid0(VALU_DEP_3) | instskip(SKIP_1) | instid1(VALU_DEP_3)
	v_dual_add_f32 v3, v6, v3 :: v_dual_mul_f32 v6, v8, v12
	v_cndmask_b32_e32 v11, v57, v26, vcc_lo
	v_dual_add_f32 v23, v23, v27 :: v_dual_mul_f32 v24, v24, v29
	ds_swizzle_b32 v30, v3 offset:swizzle(BROADCAST,32,15)
	v_add_f32_e32 v4, v22, v4
	v_mul_f32_e32 v22, v5, v8
	v_mul_f32_e32 v32, v8, v6
	v_mul_f32_e32 v6, v6, v14
	v_mul_f32_e32 v8, 4.0, v8
	v_div_scale_f32 v35, s1, v24, v9, v24
	v_div_scale_f32 v25, null, v9, v9, v22
	s_delay_alu instid0(VALU_DEP_4) | instskip(SKIP_1) | instid1(VALU_DEP_3)
	v_mul_f32_e32 v6, v5, v6
	v_div_scale_f32 v26, vcc_lo, v22, v9, v22
	v_rcp_f32_e32 v33, v25
	v_mul_f32_e32 v29, v32, v14
	s_delay_alu instid0(VALU_DEP_3) | instskip(SKIP_1) | instid1(VALU_DEP_3)
	v_mul_f32_e32 v6, v19, v6
	v_div_scale_f32 v19, null, v9, v9, v24
	v_mul_f32_e32 v29, v5, v29
	s_waitcnt lgkmcnt(0)
	v_add_f32_e32 v3, v3, v30
	v_mul_f32_e32 v28, v12, v14
	v_mul_f32_e32 v12, 0x40c00000, v12
	ds_swizzle_b32 v15, v4 offset:swizzle(BROADCAST,32,15)
	v_mul_f32_e32 v18, v18, v29
	v_rcp_f32_e32 v39, v19
	v_mul_f32_e32 v28, v5, v28
	v_mul_f32_e32 v12, v12, v21
	v_fma_f32 v21, -v25, v33, 1.0
	v_div_scale_f32 v41, null, v17, v17, v18
	s_delay_alu instid0(VALU_DEP_4) | instskip(NEXT) | instid1(VALU_DEP_3)
	v_div_scale_f32 v20, null, v9, v9, v28
	v_fmac_f32_e32 v33, v21, v33
	v_div_scale_f32 v21, null, v16, v16, v6
	s_delay_alu instid0(VALU_DEP_3) | instskip(SKIP_1) | instid1(VALU_DEP_3)
	v_rcp_f32_e32 v32, v20
	v_div_scale_f32 v34, s0, v28, v9, v28
	v_mul_f32_e32 v36, v26, v33
	s_delay_alu instid0(VALU_DEP_3)
	v_rcp_f32_e32 v38, v21
	v_div_scale_f32 v43, null, v16, v16, v12
	s_waitcnt lgkmcnt(0)
	v_mul_f32_e32 v5, v5, v15
	v_fma_f32 v40, -v25, v36, v26
	v_fma_f32 v42, -v19, v39, 1.0
	s_delay_alu instid0(TRANS32_DEP_2) | instskip(SKIP_1) | instid1(VALU_DEP_4)
	v_fma_f32 v37, -v20, v32, 1.0
	v_div_scale_f32 v44, s4, v12, v16, v12
	v_fmac_f32_e32 v36, v40, v33
	s_delay_alu instid0(TRANS32_DEP_1) | instskip(NEXT) | instid1(VALU_DEP_4)
	v_fma_f32 v40, -v21, v38, 1.0
	v_fmac_f32_e32 v32, v37, v32
	v_fma_f32 v5, v4, v14, -v5
	v_div_scale_f32 v37, s2, v6, v16, v6
	v_fma_f32 v25, -v25, v36, v26
	v_fmac_f32_e32 v38, v40, v38
	v_rcp_f32_e32 v40, v41
	v_mul_f32_e32 v29, v34, v32
	v_mul_f32_e32 v5, v8, v5
	v_div_fmas_f32 v25, v25, v33, v36
	v_rcp_f32_e32 v33, v43
	v_fmac_f32_e32 v39, v42, v39
	v_fma_f32 v26, -v20, v29, v34
	v_div_scale_f32 v36, null, v9, v9, v5
	v_div_fixup_f32 v22, v25, v9, v22
	s_delay_alu instid0(TRANS32_DEP_2) | instskip(NEXT) | instid1(VALU_DEP_4)
	v_fma_f32 v25, -v41, v40, 1.0
	v_dual_fmac_f32 v29, v26, v32 :: v_dual_mul_f32 v26, v37, v38
	v_div_scale_f32 v8, s3, v18, v17, v18
	s_delay_alu instid0(VALU_DEP_3) | instskip(NEXT) | instid1(TRANS32_DEP_1)
	v_fmac_f32_e32 v40, v25, v40
	v_fma_f32 v25, -v43, v33, 1.0
	s_delay_alu instid0(VALU_DEP_4)
	v_fma_f32 v14, -v20, v29, v34
	v_fma_f32 v20, -v21, v26, v37
	v_mul_f32_e32 v34, v35, v39
	s_mov_b32 vcc_lo, s0
	v_fmac_f32_e32 v33, v25, v33
	v_rcp_f32_e32 v25, v36
	v_fmac_f32_e32 v26, v20, v38
	v_fma_f32 v20, -v19, v34, v35
	v_mul_f32_e32 v42, v8, v40
	v_div_fmas_f32 v14, v14, v32, v29
	s_mov_b32 vcc_lo, s2
	v_fma_f32 v21, -v21, v26, v37
	v_fmac_f32_e32 v34, v20, v39
	v_fma_f32 v20, -v41, v42, v8
	v_mul_f32_e32 v29, v44, v33
	v_fma_f32 v32, -v36, v25, 1.0
	v_div_fmas_f32 v21, v21, v38, v26
	v_div_scale_f32 v26, s0, v5, v9, v5
	v_fmac_f32_e32 v42, v20, v40
	s_delay_alu instid0(VALU_DEP_4)
	v_fmac_f32_e32 v25, v32, v25
	v_fma_f32 v20, -v43, v29, v44
	v_fma_f32 v19, -v19, v34, v35
	s_mov_b32 vcc_lo, s1
	v_fma_f32 v8, -v41, v42, v8
	v_mul_f32_e32 v32, v26, v25
	v_fmac_f32_e32 v29, v20, v33
	v_div_fmas_f32 v19, v19, v39, v34
	s_mov_b32 vcc_lo, s3
	v_add_f32_e32 v4, v4, v15
	v_fma_f32 v20, -v36, v32, v26
	v_div_fmas_f32 v8, v8, v40, v42
	v_fma_f32 v27, -v43, v29, v44
	s_mov_b32 vcc_lo, s4
	v_div_fixup_f32 v6, v21, v16, v6
	v_fmac_f32_e32 v32, v20, v25
	v_div_fixup_f32 v8, v8, v17, v18
	v_div_fmas_f32 v17, v27, v33, v29
	s_mov_b32 vcc_lo, s0
	v_div_fixup_f32 v14, v14, v9, v28
	v_fma_f32 v15, -v36, v32, v26
	v_add_f32_e32 v3, v3, v8
	v_div_fixup_f32 v8, v17, v16, v12
	v_add_f32_e32 v4, v4, v6
	v_div_fixup_f32 v6, v19, v9, v24
	v_div_fmas_f32 v12, v15, v25, v32
	v_cmp_gt_f32_e32 vcc_lo, v7, v10
	v_dual_add_f32 v3, v8, v3 :: v_dual_add_f32 v14, v23, v14
	s_delay_alu instid0(VALU_DEP_4) | instskip(NEXT) | instid1(VALU_DEP_4)
	v_add_f32_e32 v4, v6, v4
	v_div_fixup_f32 v5, v12, v9, v5
	v_cndmask_b32_e32 v10, v10, v7, vcc_lo
	v_add_f32_e32 v12, v22, v31
	ds_bpermute_b32 v7, v13, v9 offset:124
	ds_bpermute_b32 v8, v13, v11 offset:124
	v_add_f32_e32 v3, v5, v3
	ds_bpermute_b32 v9, v13, v10 offset:124
	ds_bpermute_b32 v10, v13, v12 offset:124
	;; [unrolled: 1-line block ×5, first 2 shown]
	s_mov_b32 s0, exec_lo
	v_cmpx_eq_u32_e32 0, v1
	s_cbranch_execz .LBB25_3
; %bb.2:
	v_lshrrev_b32_e32 v3, 5, v0
	s_delay_alu instid0(VALU_DEP_1)
	v_mul_u32_u24_e32 v3, 28, v3
	s_waitcnt lgkmcnt(5)
	ds_store_2addr_b32 v3, v7, v8 offset0:56 offset1:57
	s_waitcnt lgkmcnt(4)
	ds_store_2addr_b32 v3, v9, v10 offset0:58 offset1:59
	;; [unrolled: 2-line block ×3, first 2 shown]
	s_waitcnt lgkmcnt(3)
	ds_store_b32 v3, v13 offset:248
.LBB25_3:
	s_or_b32 exec_lo, exec_lo, s0
	s_delay_alu instid0(SALU_CYCLE_1)
	s_mov_b32 s4, exec_lo
	s_waitcnt lgkmcnt(0)
	s_barrier
	buffer_gl0_inv
	v_cmpx_gt_u32_e32 32, v0
	s_cbranch_execz .LBB25_5
; %bb.4:
	v_and_b32_e32 v3, 7, v1
	s_delay_alu instid0(VALU_DEP_1)
	v_mul_u32_u24_e32 v10, 28, v3
	v_cmp_ne_u32_e32 vcc_lo, 7, v3
	ds_load_2addr_b32 v[4:5], v10 offset0:56 offset1:57
	ds_load_2addr_b32 v[6:7], v10 offset0:58 offset1:59
	;; [unrolled: 1-line block ×3, first 2 shown]
	v_add_co_ci_u32_e32 v11, vcc_lo, 0, v1, vcc_lo
	ds_load_b32 v10, v10 offset:248
	v_lshlrev_b32_e32 v11, 2, v11
	s_waitcnt lgkmcnt(3)
	ds_bpermute_b32 v12, v11, v4
	ds_bpermute_b32 v14, v11, v5
	s_waitcnt lgkmcnt(3)
	ds_bpermute_b32 v16, v11, v8
	s_waitcnt lgkmcnt(2)
	v_add_f32_e32 v20, v4, v12
	v_cmp_gt_u32_e32 vcc_lo, 6, v3
	v_mul_f32_e32 v24, v12, v12
	v_mul_f32_e32 v22, v8, v12
	v_cndmask_b32_e64 v18, 0, 1, vcc_lo
	s_waitcnt lgkmcnt(1)
	v_cmp_gt_f32_e32 vcc_lo, v5, v14
	s_delay_alu instid0(VALU_DEP_2)
	v_lshlrev_b32_e32 v18, 1, v18
	s_waitcnt lgkmcnt(0)
	v_dual_cndmask_b32 v5, v5, v14 :: v_dual_add_f32 v14, v8, v16
	ds_bpermute_b32 v13, v11, v7
	ds_bpermute_b32 v15, v11, v6
	ds_bpermute_b32 v17, v11, v9
	ds_bpermute_b32 v11, v11, v10
	v_add_lshl_u32 v18, v18, v1, 2
	s_waitcnt lgkmcnt(3)
	v_sub_f32_e32 v13, v13, v7
	s_waitcnt lgkmcnt(2)
	v_cmp_lt_f32_e32 vcc_lo, v6, v15
	v_mul_f32_e32 v19, v4, v4
	s_waitcnt lgkmcnt(0)
	v_dual_sub_f32 v21, v4, v12 :: v_dual_add_f32 v10, v10, v11
	v_mul_f32_e32 v26, v13, v13
	v_cndmask_b32_e32 v6, v6, v15, vcc_lo
	v_fma_f32 v23, -v4, v12, v19
	v_dual_mul_f32 v19, v19, v16 :: v_dual_mul_f32 v28, 0x40400000, v13
	v_fma_f32 v16, v4, v16, -v22
	v_dual_add_f32 v15, v9, v17 :: v_dual_mul_f32 v30, v4, v26
	v_mul_f32_e32 v9, v9, v12
	v_dual_mul_f32 v25, v20, v20 :: v_dual_mul_f32 v22, v13, v26
	v_dual_mul_f32 v27, v13, v12 :: v_dual_mul_f32 v26, 0x40c00000, v26
	v_mul_f32_e32 v16, v28, v16
	v_mul_f32_e32 v28, v30, v12
	s_delay_alu instid0(VALU_DEP_3) | instskip(NEXT) | instid1(VALU_DEP_3)
	v_div_scale_f32 v29, vcc_lo, v27, v20, v27
	v_div_scale_f32 v31, s0, v16, v20, v16
	v_dual_fmac_f32 v19, v8, v24 :: v_dual_mul_f32 v8, 4.0, v13
	v_fma_f32 v9, v4, v17, -v9
	v_div_scale_f32 v24, null, v20, v20, v27
	v_mul_f32_e32 v17, v20, v25
	v_div_scale_f32 v32, null, v20, v20, v28
	s_delay_alu instid0(VALU_DEP_4) | instskip(NEXT) | instid1(VALU_DEP_4)
	v_dual_mul_f32 v8, v8, v9 :: v_dual_mul_f32 v9, v13, v22
	v_rcp_f32_e32 v13, v24
	v_div_scale_f32 v30, null, v20, v20, v16
	s_delay_alu instid0(VALU_DEP_3) | instskip(SKIP_1) | instid1(VALU_DEP_2)
	v_rcp_f32_e32 v35, v32
	v_div_scale_f32 v36, s1, v28, v20, v28
	v_rcp_f32_e32 v33, v30
	s_delay_alu instid0(TRANS32_DEP_3) | instskip(NEXT) | instid1(VALU_DEP_1)
	v_fma_f32 v34, -v24, v13, 1.0
	v_dual_mul_f32 v22, v4, v22 :: v_dual_fmac_f32 v13, v34, v13
	s_delay_alu instid0(VALU_DEP_1) | instskip(SKIP_4) | instid1(VALU_DEP_3)
	v_mul_f32_e32 v22, v22, v12
	s_waitcnt_depctr 0xfff
	v_fma_f32 v34, -v30, v33, 1.0
	v_mul_f32_e32 v37, v29, v13
	v_dual_mul_f32 v4, v4, v9 :: v_dual_mul_f32 v21, v21, v22
	v_fmac_f32_e32 v33, v34, v33
	s_delay_alu instid0(VALU_DEP_3) | instskip(NEXT) | instid1(VALU_DEP_3)
	v_fma_f32 v40, -v24, v37, v29
	v_mul_f32_e32 v4, v4, v12
	s_delay_alu instid0(VALU_DEP_4) | instskip(NEXT) | instid1(VALU_DEP_3)
	v_div_scale_f32 v22, null, v25, v25, v21
	v_fmac_f32_e32 v37, v40, v13
	s_delay_alu instid0(VALU_DEP_2) | instskip(NEXT) | instid1(VALU_DEP_1)
	v_rcp_f32_e32 v38, v22
	v_fma_f32 v24, -v24, v37, v29
	s_delay_alu instid0(VALU_DEP_1)
	v_div_fmas_f32 v13, v24, v13, v37
	v_mul_f32_e32 v24, v31, v33
	s_waitcnt_depctr 0xfff
	v_fma_f32 v42, -v22, v38, 1.0
	v_fmac_f32_e32 v23, v12, v12
	v_mul_f32_e32 v19, v26, v19
	s_mov_b32 vcc_lo, s1
	v_div_fixup_f32 v13, v13, v20, v27
	v_fmac_f32_e32 v38, v42, v38
	v_mul_f32_e32 v4, v23, v4
	v_fma_f32 v23, -v32, v35, 1.0
	v_div_scale_f32 v9, null, v25, v25, v19
	v_div_scale_f32 v26, null, v20, v20, v8
	s_delay_alu instid0(VALU_DEP_4) | instskip(NEXT) | instid1(VALU_DEP_4)
	v_div_scale_f32 v39, null, v17, v17, v4
	v_fmac_f32_e32 v35, v23, v35
	v_div_scale_f32 v23, s2, v21, v25, v21
	s_delay_alu instid0(VALU_DEP_3)
	v_rcp_f32_e32 v34, v39
	v_rcp_f32_e32 v12, v9
	v_div_scale_f32 v40, s3, v4, v17, v4
	v_add_f32_e32 v7, v7, v13
	s_waitcnt_depctr 0xfff
	v_fma_f32 v29, -v39, v34, 1.0
	v_mul_f32_e32 v41, v36, v35
	v_fma_f32 v42, -v9, v12, 1.0
	s_delay_alu instid0(VALU_DEP_3) | instskip(NEXT) | instid1(VALU_DEP_3)
	v_fmac_f32_e32 v34, v29, v34
	v_fma_f32 v43, -v32, v41, v36
	s_delay_alu instid0(VALU_DEP_1) | instskip(SKIP_1) | instid1(VALU_DEP_2)
	v_dual_fmac_f32 v12, v42, v12 :: v_dual_fmac_f32 v41, v43, v35
	v_mul_f32_e32 v43, v23, v38
	v_fma_f32 v29, -v32, v41, v36
	s_delay_alu instid0(VALU_DEP_2) | instskip(NEXT) | instid1(VALU_DEP_1)
	v_fma_f32 v32, -v22, v43, v23
	v_fmac_f32_e32 v43, v32, v38
	v_mul_f32_e32 v32, v40, v34
	s_delay_alu instid0(VALU_DEP_4)
	v_div_fmas_f32 v27, v29, v35, v41
	v_fma_f32 v29, -v30, v24, v31
	s_mov_b32 vcc_lo, s2
	v_fma_f32 v22, -v22, v43, v23
	v_fma_f32 v23, -v39, v32, v40
	v_div_fixup_f32 v13, v27, v20, v28
	v_fmac_f32_e32 v24, v29, v33
	v_div_scale_f32 v28, s1, v19, v25, v19
	s_delay_alu instid0(VALU_DEP_4) | instskip(SKIP_1) | instid1(VALU_DEP_4)
	v_fmac_f32_e32 v32, v23, v34
	v_div_fmas_f32 v22, v22, v38, v43
	v_fma_f32 v30, -v30, v24, v31
	s_delay_alu instid0(VALU_DEP_4)
	v_mul_f32_e32 v23, v28, v12
	s_mov_b32 vcc_lo, s0
	v_rcp_f32_e32 v27, v26
	ds_bpermute_b32 v29, v18, v7
	v_div_fmas_f32 v24, v30, v33, v24
	v_fma_f32 v30, -v39, v32, v40
	s_mov_b32 vcc_lo, s3
	v_fma_f32 v33, -v9, v23, v28
	ds_bpermute_b32 v31, v18, v20
	v_div_fixup_f32 v16, v24, v20, v16
	v_div_fmas_f32 v30, v30, v34, v32
	s_mov_b32 vcc_lo, s1
	v_fma_f32 v35, -v26, v27, 1.0
	s_delay_alu instid0(VALU_DEP_2) | instskip(NEXT) | instid1(VALU_DEP_2)
	v_div_fixup_f32 v4, v30, v17, v4
	v_fmac_f32_e32 v27, v35, v27
	v_div_scale_f32 v35, s0, v8, v20, v8
	s_delay_alu instid0(VALU_DEP_3) | instskip(NEXT) | instid1(VALU_DEP_2)
	v_add_f32_e32 v4, v10, v4
	v_dual_fmac_f32 v23, v33, v12 :: v_dual_mul_f32 v32, v35, v27
	s_delay_alu instid0(VALU_DEP_1) | instskip(NEXT) | instid1(VALU_DEP_2)
	v_fma_f32 v9, -v9, v23, v28
	v_fma_f32 v17, -v26, v32, v35
	s_delay_alu instid0(VALU_DEP_2) | instskip(SKIP_1) | instid1(VALU_DEP_2)
	v_div_fmas_f32 v9, v9, v12, v23
	s_mov_b32 vcc_lo, s0
	v_fmac_f32_e32 v32, v17, v27
	v_div_fixup_f32 v17, v22, v25, v21
	s_waitcnt lgkmcnt(0)
	v_add_f32_e32 v28, v20, v31
	v_div_fixup_f32 v9, v9, v25, v19
	ds_bpermute_b32 v21, v18, v6
	v_dual_add_f32 v15, v15, v17 :: v_dual_add_f32 v4, v9, v4
	v_add_f32_e32 v9, v14, v13
	v_fma_f32 v10, -v26, v32, v35
	ds_bpermute_b32 v23, v18, v9
	v_div_fmas_f32 v10, v10, v27, v32
	v_mul_f32_e32 v27, v28, v28
	s_delay_alu instid0(VALU_DEP_2) | instskip(NEXT) | instid1(VALU_DEP_1)
	v_div_fixup_f32 v8, v10, v20, v8
	v_dual_sub_f32 v11, v29, v7 :: v_dual_add_f32 v4, v8, v4
	s_delay_alu instid0(VALU_DEP_1)
	v_mul_f32_e32 v17, v11, v11
	v_add_f32_e32 v10, v16, v15
	ds_bpermute_b32 v8, v18, v5
	v_dual_sub_f32 v30, v20, v31 :: v_dual_mul_f32 v15, v11, v17
	ds_bpermute_b32 v33, v18, v10
	s_waitcnt lgkmcnt(2)
	v_dual_mul_f32 v13, v20, v17 :: v_dual_add_f32 v36, v9, v23
	ds_bpermute_b32 v18, v18, v4
	v_mul_f32_e32 v22, v20, v15
	s_delay_alu instid0(VALU_DEP_1) | instskip(NEXT) | instid1(VALU_DEP_1)
	v_mul_f32_e32 v22, v22, v31
	v_dual_mul_f32 v29, v11, v31 :: v_dual_mul_f32 v22, v30, v22
	s_delay_alu instid0(VALU_DEP_1) | instskip(NEXT) | instid1(VALU_DEP_1)
	v_div_scale_f32 v12, null, v28, v28, v29
	v_rcp_f32_e32 v19, v12
	s_waitcnt lgkmcnt(0)
	v_add_f32_e32 v4, v4, v18
	s_waitcnt_depctr 0xfff
	v_fma_f32 v14, -v12, v19, 1.0
	s_delay_alu instid0(VALU_DEP_1) | instskip(SKIP_1) | instid1(VALU_DEP_1)
	v_fmac_f32_e32 v19, v14, v19
	v_div_scale_f32 v14, vcc_lo, v29, v28, v29
	v_mul_f32_e32 v24, v14, v19
	s_delay_alu instid0(VALU_DEP_1) | instskip(NEXT) | instid1(VALU_DEP_1)
	v_fma_f32 v32, -v12, v24, v14
	v_fmac_f32_e32 v24, v32, v19
	v_div_scale_f32 v32, null, v27, v27, v22
	s_delay_alu instid0(VALU_DEP_2) | instskip(NEXT) | instid1(VALU_DEP_1)
	v_fma_f32 v12, -v12, v24, v14
	v_div_fmas_f32 v12, v12, v19, v24
	v_cmp_gt_f32_e32 vcc_lo, v5, v8
	s_delay_alu instid0(VALU_DEP_2) | instskip(SKIP_2) | instid1(VALU_DEP_3)
	v_div_fixup_f32 v12, v12, v28, v29
	v_mul_f32_e32 v13, v13, v31
	v_cndmask_b32_e32 v5, v5, v8, vcc_lo
	v_add_f32_e32 v12, v7, v12
	s_delay_alu instid0(VALU_DEP_3) | instskip(SKIP_2) | instid1(VALU_DEP_3)
	v_div_scale_f32 v16, null, v28, v28, v13
	v_div_scale_f32 v14, s0, v13, v28, v13
	v_div_scale_f32 v7, s1, v22, v27, v22
	v_rcp_f32_e32 v26, v16
	s_mov_b32 vcc_lo, s0
	s_waitcnt_depctr 0xfff
	v_fma_f32 v30, -v16, v26, 1.0
	s_delay_alu instid0(VALU_DEP_1) | instskip(SKIP_2) | instid1(VALU_DEP_2)
	v_fmac_f32_e32 v26, v30, v26
	v_rcp_f32_e32 v30, v32
	v_mul_f32_e32 v17, 0x40c00000, v17
	v_mul_f32_e32 v19, v14, v26
	s_delay_alu instid0(VALU_DEP_1) | instskip(SKIP_3) | instid1(VALU_DEP_2)
	v_fma_f32 v24, -v16, v19, v14
	s_waitcnt_depctr 0xfff
	v_fma_f32 v29, -v32, v30, 1.0
	v_dual_mul_f32 v8, v9, v31 :: v_dual_fmac_f32 v19, v24, v26
	v_dual_fmac_f32 v30, v29, v30 :: v_dual_mul_f32 v35, 0x40400000, v11
	s_delay_alu instid0(VALU_DEP_2) | instskip(SKIP_1) | instid1(VALU_DEP_4)
	v_fma_f32 v8, v20, v23, -v8
	v_fma_f32 v24, -v20, v31, v25
	v_fma_f32 v14, -v16, v19, v14
	s_delay_alu instid0(VALU_DEP_4) | instskip(SKIP_2) | instid1(VALU_DEP_4)
	v_mul_f32_e32 v16, v7, v30
	v_mul_f32_e32 v15, v11, v15
	v_dual_mul_f32 v8, v35, v8 :: v_dual_mul_f32 v23, v25, v23
	v_div_fmas_f32 v14, v14, v26, v19
	v_mul_f32_e32 v19, v31, v31
	s_delay_alu instid0(VALU_DEP_4)
	v_mul_f32_e32 v15, v20, v15
	v_mul_f32_e32 v34, v28, v27
	v_fmac_f32_e32 v24, v31, v31
	v_mul_f32_e32 v11, 4.0, v11
	v_fmac_f32_e32 v23, v19, v9
	v_mul_f32_e32 v15, v15, v31
	v_add_f32_e32 v19, v10, v33
	v_mul_f32_e32 v10, v10, v31
	v_cmp_gt_u32_e32 vcc_lo, 4, v3
	v_mul_f32_e32 v17, v17, v23
	v_div_scale_f32 v29, null, v28, v28, v8
	s_delay_alu instid0(VALU_DEP_4) | instskip(SKIP_3) | instid1(VALU_DEP_4)
	v_fma_f32 v10, v20, v33, -v10
	v_mul_f32_e32 v15, v24, v15
	v_fma_f32 v24, -v32, v16, v7
	v_div_scale_f32 v23, null, v27, v27, v17
	v_mul_f32_e32 v10, v11, v10
	v_cndmask_b32_e64 v3, 0, 1, vcc_lo
	s_delay_alu instid0(VALU_DEP_4) | instskip(SKIP_3) | instid1(VALU_DEP_2)
	v_fmac_f32_e32 v16, v24, v30
	s_mov_b32 vcc_lo, s1
	v_rcp_f32_e32 v35, v29
	v_div_scale_f32 v37, null, v28, v28, v10
	v_fma_f32 v7, -v32, v16, v7
	v_rcp_f32_e32 v32, v23
	v_div_scale_f32 v25, null, v34, v34, v15
	v_div_scale_f32 v20, s2, v15, v34, v15
	s_delay_alu instid0(VALU_DEP_3) | instskip(NEXT) | instid1(VALU_DEP_3)
	v_div_fmas_f32 v16, v7, v30, v16
	v_rcp_f32_e32 v26, v25
	s_delay_alu instid0(TRANS32_DEP_3) | instskip(SKIP_1) | instid1(TRANS32_DEP_2)
	v_fma_f32 v9, -v29, v35, 1.0
	v_div_fixup_f32 v13, v14, v28, v13
	v_fma_f32 v33, -v23, v32, 1.0
	v_div_fixup_f32 v16, v16, v27, v22
	s_delay_alu instid0(VALU_DEP_4) | instskip(SKIP_1) | instid1(VALU_DEP_4)
	v_fmac_f32_e32 v35, v9, v35
	v_div_scale_f32 v9, s0, v8, v28, v8
	v_fmac_f32_e32 v32, v33, v32
	v_rcp_f32_e32 v33, v37
	s_delay_alu instid0(TRANS32_DEP_2) | instskip(SKIP_2) | instid1(VALU_DEP_2)
	v_fma_f32 v24, -v25, v26, 1.0
	s_mov_b32 vcc_lo, s0
	v_add_f32_e32 v14, v19, v16
	v_fmac_f32_e32 v26, v24, v26
	s_waitcnt_depctr 0xfff
	v_fma_f32 v30, -v37, v33, 1.0
	v_mul_f32_e32 v11, v20, v26
	s_delay_alu instid0(VALU_DEP_2) | instskip(SKIP_2) | instid1(VALU_DEP_2)
	v_fmac_f32_e32 v33, v30, v33
	v_lshlrev_b32_e32 v3, 2, v3
	v_div_scale_f32 v30, s0, v10, v28, v10
	v_add_lshl_u32 v3, v3, v1, 2
	ds_bpermute_b32 v7, v3, v12
	s_waitcnt lgkmcnt(0)
	v_dual_mul_f32 v31, v9, v35 :: v_dual_sub_f32 v18, v7, v12
	s_delay_alu instid0(VALU_DEP_1) | instskip(NEXT) | instid1(VALU_DEP_1)
	v_fma_f32 v24, -v29, v31, v9
	v_fmac_f32_e32 v31, v24, v35
	v_fma_f32 v24, -v25, v11, v20
	s_delay_alu instid0(VALU_DEP_2) | instskip(NEXT) | instid1(VALU_DEP_2)
	v_fma_f32 v9, -v29, v31, v9
	v_fmac_f32_e32 v11, v24, v26
	ds_bpermute_b32 v29, v3, v28
	v_div_fmas_f32 v9, v9, v35, v31
	v_fma_f32 v20, -v25, v11, v20
	s_mov_b32 vcc_lo, s2
	s_delay_alu instid0(VALU_DEP_2) | instskip(NEXT) | instid1(VALU_DEP_2)
	v_div_fixup_f32 v8, v9, v28, v8
	v_div_fmas_f32 v11, v20, v26, v11
	v_mul_f32_e32 v20, v30, v33
	v_div_scale_f32 v38, s3, v17, v27, v17
	s_delay_alu instid0(VALU_DEP_1) | instskip(NEXT) | instid1(VALU_DEP_3)
	s_mov_b32 vcc_lo, s3
	v_div_fixup_f32 v11, v11, v34, v15
	s_delay_alu instid0(VALU_DEP_2) | instskip(NEXT) | instid1(VALU_DEP_2)
	v_mul_f32_e32 v24, v38, v32
	v_add_f32_e32 v4, v4, v11
	s_delay_alu instid0(VALU_DEP_2) | instskip(SKIP_1) | instid1(VALU_DEP_1)
	v_fma_f32 v25, -v23, v24, v38
	s_waitcnt lgkmcnt(0)
	v_dual_fmac_f32 v24, v25, v32 :: v_dual_mul_f32 v25, v18, v29
	s_delay_alu instid0(VALU_DEP_1) | instskip(SKIP_1) | instid1(VALU_DEP_2)
	v_fma_f32 v15, -v23, v24, v38
	v_fma_f32 v23, -v37, v20, v30
	v_div_fmas_f32 v15, v15, v32, v24
	s_delay_alu instid0(VALU_DEP_2) | instskip(SKIP_1) | instid1(VALU_DEP_2)
	v_fmac_f32_e32 v20, v23, v33
	s_mov_b32 vcc_lo, s0
	v_div_fixup_f32 v15, v15, v27, v17
	v_add_f32_e32 v7, v28, v29
	s_delay_alu instid0(VALU_DEP_3) | instskip(NEXT) | instid1(VALU_DEP_3)
	v_fma_f32 v11, -v37, v20, v30
	v_add_f32_e32 v4, v15, v4
	s_delay_alu instid0(VALU_DEP_3) | instskip(NEXT) | instid1(VALU_DEP_3)
	v_div_scale_f32 v23, null, v7, v7, v25
	v_div_fmas_f32 v11, v11, v33, v20
	v_cmp_lt_f32_e32 vcc_lo, v6, v21
	v_mul_f32_e32 v22, v7, v7
	s_delay_alu instid0(VALU_DEP_4) | instskip(NEXT) | instid1(VALU_DEP_3)
	v_rcp_f32_e32 v17, v23
	v_div_fixup_f32 v9, v11, v28, v10
	v_cndmask_b32_e32 v6, v6, v21, vcc_lo
	v_add_f32_e32 v11, v36, v13
	v_add_f32_e32 v13, v8, v14
	v_div_scale_f32 v8, vcc_lo, v25, v7, v25
	v_dual_add_f32 v4, v9, v4 :: v_dual_mul_f32 v9, v18, v18
	s_delay_alu instid0(TRANS32_DEP_1)
	v_fma_f32 v10, -v23, v17, 1.0
	ds_bpermute_b32 v16, v3, v11
	v_dual_mul_f32 v31, v7, v22 :: v_dual_sub_f32 v32, v28, v29
	v_mul_f32_e32 v21, v18, v9
	v_fmac_f32_e32 v17, v10, v17
	ds_bpermute_b32 v10, v3, v5
	v_mul_f32_e32 v14, v28, v9
	ds_bpermute_b32 v20, v3, v13
	v_mul_f32_e32 v30, v28, v21
	v_mul_f32_e32 v19, v8, v17
	ds_bpermute_b32 v15, v3, v6
	ds_bpermute_b32 v3, v3, v4
	v_mul_f32_e32 v30, v30, v29
	v_fma_f32 v24, -v23, v19, v8
	v_mul_f32_e32 v14, v14, v29
	s_delay_alu instid0(VALU_DEP_2) | instskip(NEXT) | instid1(VALU_DEP_1)
	v_fmac_f32_e32 v19, v24, v17
	v_fma_f32 v23, -v23, v19, v8
	s_waitcnt lgkmcnt(3)
	v_cmp_gt_f32_e64 s0, v5, v10
	s_delay_alu instid0(VALU_DEP_1) | instskip(SKIP_4) | instid1(VALU_DEP_4)
	v_cndmask_b32_e64 v8, v5, v10, s0
	v_mul_f32_e32 v5, v32, v30
	v_div_scale_f32 v26, null, v7, v7, v14
	v_mul_f32_e32 v30, 0x40400000, v18
	v_div_fmas_f32 v10, v23, v17, v19
	v_div_scale_f32 v23, null, v22, v22, v5
	s_delay_alu instid0(VALU_DEP_4) | instskip(SKIP_4) | instid1(VALU_DEP_1)
	v_rcp_f32_e32 v24, v26
	s_waitcnt lgkmcnt(0)
	v_add_f32_e32 v3, v4, v3
	v_div_fixup_f32 v10, v10, v7, v25
	v_rcp_f32_e32 v32, v23
	v_add_f32_e32 v10, v12, v10
	s_waitcnt_depctr 0xfff
	v_fma_f32 v19, -v26, v24, 1.0
	v_fma_f32 v35, -v23, v32, 1.0
	s_delay_alu instid0(VALU_DEP_2) | instskip(SKIP_1) | instid1(VALU_DEP_3)
	v_dual_fmac_f32 v24, v19, v24 :: v_dual_mul_f32 v21, v18, v21
	v_dual_mul_f32 v18, 4.0, v18 :: v_dual_mul_f32 v17, v11, v29
	v_fmac_f32_e32 v32, v35, v32
	v_div_scale_f32 v19, vcc_lo, v14, v7, v14
	s_delay_alu instid0(VALU_DEP_4) | instskip(NEXT) | instid1(VALU_DEP_4)
	v_mul_f32_e32 v21, v28, v21
	v_fma_f32 v17, v28, v16, -v17
	s_delay_alu instid0(VALU_DEP_3) | instskip(NEXT) | instid1(VALU_DEP_3)
	v_mul_f32_e32 v33, v19, v24
	v_mul_f32_e32 v21, v21, v29
	s_delay_alu instid0(VALU_DEP_3) | instskip(SKIP_3) | instid1(VALU_DEP_3)
	v_mul_f32_e32 v17, v30, v17
	v_fma_f32 v30, -v28, v29, v27
	v_mul_f32_e32 v27, v27, v16
	v_fma_f32 v25, -v26, v33, v19
	v_fmac_f32_e32 v30, v29, v29
	s_delay_alu instid0(VALU_DEP_2) | instskip(NEXT) | instid1(VALU_DEP_2)
	v_fmac_f32_e32 v33, v25, v24
	v_mul_f32_e32 v21, v30, v21
	s_delay_alu instid0(VALU_DEP_2) | instskip(NEXT) | instid1(VALU_DEP_2)
	v_fma_f32 v19, -v26, v33, v19
	v_div_scale_f32 v35, null, v31, v31, v21
	s_delay_alu instid0(VALU_DEP_2) | instskip(NEXT) | instid1(VALU_DEP_2)
	v_div_fmas_f32 v19, v19, v24, v33
	v_rcp_f32_e32 v38, v35
	s_delay_alu instid0(VALU_DEP_1) | instskip(SKIP_2) | instid1(VALU_DEP_1)
	v_div_fixup_f32 v14, v19, v7, v14
	s_waitcnt_depctr 0xfff
	v_fma_f32 v39, -v35, v38, 1.0
	v_fmac_f32_e32 v38, v39, v38
	v_div_scale_f32 v34, null, v7, v7, v17
	v_mul_f32_e32 v9, 0x40c00000, v9
	s_delay_alu instid0(VALU_DEP_2) | instskip(SKIP_2) | instid1(VALU_DEP_1)
	v_rcp_f32_e32 v36, v34
	s_waitcnt_depctr 0xfff
	v_fma_f32 v37, -v34, v36, 1.0
	v_fmac_f32_e32 v36, v37, v36
	v_mul_f32_e32 v30, v29, v29
	v_mul_f32_e32 v29, v13, v29
	v_div_scale_f32 v37, s1, v17, v7, v17
	v_add_f32_e32 v13, v13, v20
	s_delay_alu instid0(VALU_DEP_4) | instskip(SKIP_3) | instid1(VALU_DEP_4)
	v_fmac_f32_e32 v27, v30, v11
	v_div_scale_f32 v30, s0, v5, v22, v5
	v_fma_f32 v28, v28, v20, -v29
	v_mul_f32_e32 v29, v37, v36
	v_mul_f32_e32 v9, v9, v27
	s_delay_alu instid0(VALU_DEP_4)
	v_mul_f32_e32 v25, v30, v32
	s_mov_b32 vcc_lo, s0
	v_mul_f32_e32 v18, v18, v28
	v_add_f32_e32 v11, v11, v16
	v_div_scale_f32 v27, null, v22, v22, v9
	v_fma_f32 v26, -v23, v25, v30
	s_delay_alu instid0(VALU_DEP_4) | instskip(NEXT) | instid1(VALU_DEP_3)
	v_div_scale_f32 v41, null, v7, v7, v18
	v_rcp_f32_e32 v40, v27
	v_div_scale_f32 v43, s3, v9, v22, v9
	s_delay_alu instid0(VALU_DEP_3) | instskip(SKIP_2) | instid1(VALU_DEP_3)
	v_fmac_f32_e32 v25, v26, v32
	v_fma_f32 v26, -v34, v29, v37
	v_add_f32_e32 v11, v11, v14
	v_fma_f32 v23, -v23, v25, v30
	s_delay_alu instid0(VALU_DEP_3) | instskip(NEXT) | instid1(TRANS32_DEP_1)
	v_fmac_f32_e32 v29, v26, v36
	v_fma_f32 v39, -v27, v40, 1.0
	s_delay_alu instid0(VALU_DEP_3) | instskip(NEXT) | instid1(VALU_DEP_3)
	v_div_fmas_f32 v23, v23, v32, v25
	v_fma_f32 v25, -v34, v29, v37
	s_delay_alu instid0(VALU_DEP_3)
	v_fmac_f32_e32 v40, v39, v40
	v_rcp_f32_e32 v39, v41
	s_mov_b32 vcc_lo, s1
	v_div_fixup_f32 v5, v23, v22, v5
	v_div_fmas_f32 v25, v25, v36, v29
	v_mul_f32_e32 v26, v43, v40
	v_div_scale_f32 v28, s2, v21, v31, v21
	s_delay_alu instid0(VALU_DEP_1) | instskip(SKIP_2) | instid1(VALU_DEP_3)
	s_mov_b32 vcc_lo, s2
	v_add_f32_e32 v5, v13, v5
	v_div_fixup_f32 v13, v25, v7, v17
	v_mul_f32_e32 v42, v28, v38
	v_fma_f32 v30, -v41, v39, 1.0
	s_delay_alu instid0(VALU_DEP_3) | instskip(NEXT) | instid1(VALU_DEP_3)
	v_add_f32_e32 v12, v13, v5
	v_fma_f32 v24, -v35, v42, v28
	s_delay_alu instid0(VALU_DEP_3) | instskip(SKIP_1) | instid1(VALU_DEP_3)
	v_fmac_f32_e32 v39, v30, v39
	v_div_scale_f32 v30, s0, v18, v7, v18
	v_fmac_f32_e32 v42, v24, v38
	v_fma_f32 v24, -v27, v26, v43
	s_delay_alu instid0(VALU_DEP_3) | instskip(NEXT) | instid1(VALU_DEP_3)
	v_mul_f32_e32 v29, v30, v39
	v_fma_f32 v28, -v35, v42, v28
	s_delay_alu instid0(VALU_DEP_3) | instskip(NEXT) | instid1(VALU_DEP_2)
	v_fmac_f32_e32 v26, v24, v40
	v_div_fmas_f32 v24, v28, v38, v42
	s_delay_alu instid0(VALU_DEP_4) | instskip(NEXT) | instid1(VALU_DEP_3)
	v_fma_f32 v28, -v41, v29, v30
	v_fma_f32 v4, -v27, v26, v43
	s_mov_b32 vcc_lo, s3
	s_delay_alu instid0(VALU_DEP_3) | instskip(NEXT) | instid1(VALU_DEP_3)
	v_div_fixup_f32 v16, v24, v31, v21
	v_fmac_f32_e32 v29, v28, v39
	s_delay_alu instid0(VALU_DEP_3) | instskip(SKIP_1) | instid1(VALU_DEP_3)
	v_div_fmas_f32 v4, v4, v40, v26
	s_mov_b32 vcc_lo, s0
	v_add_f32_e32 v3, v3, v16
	s_delay_alu instid0(VALU_DEP_3) | instskip(NEXT) | instid1(VALU_DEP_3)
	v_fma_f32 v20, -v41, v29, v30
	v_div_fixup_f32 v4, v4, v22, v9
	s_delay_alu instid0(VALU_DEP_2) | instskip(NEXT) | instid1(VALU_DEP_2)
	v_div_fmas_f32 v9, v20, v39, v29
	v_add_f32_e32 v3, v4, v3
	v_cmp_lt_f32_e32 vcc_lo, v6, v15
	s_delay_alu instid0(VALU_DEP_3) | instskip(SKIP_1) | instid1(VALU_DEP_2)
	v_div_fixup_f32 v4, v9, v7, v18
	v_cndmask_b32_e32 v9, v6, v15, vcc_lo
	v_add_f32_e32 v13, v4, v3
.LBB25_5:
	s_or_b32 exec_lo, exec_lo, s4
	s_branch .LBB25_34
.LBB25_6:
                                        ; implicit-def: $vgpr7
                                        ; implicit-def: $vgpr9
                                        ; implicit-def: $vgpr11
                                        ; implicit-def: $vgpr13
	s_cbranch_execz .LBB25_34
; %bb.7:
	s_sub_i32 s0, s6, s24
	s_mov_b32 s1, exec_lo
                                        ; implicit-def: $vgpr10
	v_cmpx_gt_u32_e64 s0, v0
	s_cbranch_execz .LBB25_9
; %bb.8:
	v_add_co_u32 v3, s2, s19, v2
	s_delay_alu instid0(VALU_DEP_1)
	v_add_co_ci_u32_e64 v4, null, s25, 0, s2
	flat_load_b32 v10, v[3:4]
.LBB25_9:
	s_or_b32 exec_lo, exec_lo, s1
	v_or_b32_e32 v3, 0x100, v0
	s_delay_alu instid0(VALU_DEP_1)
	v_cmp_gt_u32_e32 vcc_lo, s0, v3
                                        ; implicit-def: $vgpr3
	s_and_saveexec_b32 s1, vcc_lo
	s_cbranch_execz .LBB25_11
; %bb.10:
	v_add_co_u32 v2, s2, s19, v2
	s_delay_alu instid0(VALU_DEP_1)
	v_add_co_ci_u32_e64 v3, null, s25, 0, s2
	flat_load_b32 v3, v[2:3] offset:1024
.LBB25_11:
	s_or_b32 exec_lo, exec_lo, s1
	v_dual_mov_b32 v13, 0 :: v_dual_mov_b32 v12, 0
	s_waitcnt vmcnt(0) lgkmcnt(0)
	v_dual_mov_b32 v7, 1.0 :: v_dual_mov_b32 v8, v10
	v_mov_b32_e32 v11, 0
	v_mov_b32_e32 v9, v10
	s_and_saveexec_b32 s1, vcc_lo
	s_cbranch_execz .LBB25_13
; %bb.12:
	v_sub_f32_e32 v2, v3, v10
	v_cmp_lt_f32_e32 vcc_lo, v3, v10
	v_mov_b32_e32 v6, 0
	s_delay_alu instid0(VALU_DEP_3) | instskip(NEXT) | instid1(VALU_DEP_1)
	v_mul_f32_e32 v4, v2, v2
	v_mul_f32_e32 v7, 0x40c00000, v4
	;; [unrolled: 1-line block ×3, first 2 shown]
	v_mul_f32_e32 v11, 4.0, v2
	v_mul_f32_e32 v9, 0x40400000, v2
	s_delay_alu instid0(VALU_DEP_3) | instskip(SKIP_1) | instid1(VALU_DEP_2)
	v_dual_mul_f32 v7, 0, v7 :: v_dual_mul_f32 v8, v2, v5
	v_mul_f32_e32 v5, 0, v5
	v_dual_fmamk_f32 v13, v8, 0x3e000000, v6 :: v_dual_cndmask_b32 v8, v10, v3
	v_mul_f32_e32 v14, 0, v11
	v_mul_f32_e32 v6, 0, v9
	s_delay_alu instid0(VALU_DEP_4) | instskip(NEXT) | instid1(VALU_DEP_4)
	v_fma_f32 v12, 0x3e800000, v5, 0
	v_fmac_f32_e32 v13, 0x3e800000, v7
	v_cmp_lt_f32_e32 vcc_lo, v10, v3
	v_mul_f32_e32 v11, 0.5, v4
	s_delay_alu instid0(VALU_DEP_4)
	v_dual_mov_b32 v7, 2.0 :: v_dual_fmac_f32 v12, 0.5, v6
	v_dual_cndmask_b32 v9, v10, v3 :: v_dual_fmac_f32 v10, 0.5, v2
	v_fmac_f32_e32 v13, 0.5, v14
.LBB25_13:
	s_or_b32 exec_lo, exec_lo, s1
	v_cmp_ne_u32_e32 vcc_lo, 31, v1
	s_min_u32 s4, s0, 0x100
	v_add_nc_u32_e32 v17, 1, v1
	s_mov_b32 s5, exec_lo
	v_add_co_ci_u32_e32 v2, vcc_lo, 0, v1, vcc_lo
	s_delay_alu instid0(VALU_DEP_1)
	v_lshlrev_b32_e32 v2, 2, v2
	ds_bpermute_b32 v6, v2, v7
	ds_bpermute_b32 v15, v2, v8
	;; [unrolled: 1-line block ×7, first 2 shown]
	v_and_b32_e32 v2, 0xe0, v0
	s_delay_alu instid0(VALU_DEP_1) | instskip(NEXT) | instid1(VALU_DEP_1)
	v_sub_nc_u32_e64 v2, s4, v2 clamp
	v_cmpx_lt_u32_e64 v17, v2
	s_cbranch_execz .LBB25_15
; %bb.14:
	s_waitcnt lgkmcnt(3)
	v_sub_f32_e32 v16, v16, v10
	v_cmp_gt_f32_e32 vcc_lo, v8, v15
	s_waitcnt lgkmcnt(0)
	v_dual_add_f32 v17, v7, v6 :: v_dual_add_f32 v4, v13, v4
	s_delay_alu instid0(VALU_DEP_3) | instskip(NEXT) | instid1(VALU_DEP_2)
	v_dual_sub_f32 v20, v7, v6 :: v_dual_mul_f32 v19, v16, v16
	v_dual_cndmask_b32 v8, v8, v15 :: v_dual_mul_f32 v25, v17, v17
	s_delay_alu instid0(VALU_DEP_2) | instskip(SKIP_2) | instid1(VALU_DEP_3)
	v_dual_mul_f32 v23, v7, v19 :: v_dual_mul_f32 v18, v16, v6
	v_dual_add_f32 v15, v11, v14 :: v_dual_mul_f32 v26, v16, v19
	v_dual_mul_f32 v21, v11, v6 :: v_dual_mul_f32 v28, 0x40400000, v16
	v_div_scale_f32 v22, null, v17, v17, v18
	s_delay_alu instid0(VALU_DEP_4) | instskip(NEXT) | instid1(VALU_DEP_4)
	v_dual_mul_f32 v23, v23, v6 :: v_dual_mul_f32 v32, v17, v25
	v_mul_f32_e32 v29, v7, v26
	s_delay_alu instid0(VALU_DEP_3) | instskip(SKIP_1) | instid1(VALU_DEP_3)
	v_rcp_f32_e32 v27, v22
	v_div_scale_f32 v35, vcc_lo, v18, v17, v18
	v_div_scale_f32 v30, null, v17, v17, v23
	v_mul_f32_e32 v26, v16, v26
	v_mul_f32_e32 v16, 4.0, v16
	v_dual_mul_f32 v24, v7, v7 :: v_dual_mul_f32 v29, v29, v6
	s_delay_alu instid0(VALU_DEP_4) | instskip(NEXT) | instid1(TRANS32_DEP_2)
	v_rcp_f32_e32 v34, v30
	v_fma_f32 v33, -v22, v27, 1.0
	v_fma_f32 v21, v7, v14, -v21
	s_delay_alu instid0(VALU_DEP_3) | instskip(SKIP_4) | instid1(TRANS32_DEP_1)
	v_fma_f32 v31, -v7, v6, v24
	v_mul_f32_e32 v20, v20, v29
	v_div_scale_f32 v36, s0, v23, v17, v23
	v_fmac_f32_e32 v27, v33, v27
	v_mul_f32_e32 v19, 0x40c00000, v19
	v_fma_f32 v33, -v30, v34, 1.0
	v_mul_f32_e32 v21, v28, v21
	v_div_scale_f32 v28, null, v25, v25, v20
	s_delay_alu instid0(VALU_DEP_3) | instskip(NEXT) | instid1(VALU_DEP_3)
	v_dual_mul_f32 v29, v35, v27 :: v_dual_fmac_f32 v34, v33, v34
	v_div_scale_f32 v33, null, v17, v17, v21
	s_delay_alu instid0(VALU_DEP_3) | instskip(NEXT) | instid1(VALU_DEP_2)
	v_rcp_f32_e32 v37, v28
	v_fma_f32 v38, -v22, v29, v35
	v_mul_f32_e32 v26, v7, v26
	s_delay_alu instid0(VALU_DEP_3) | instskip(NEXT) | instid1(VALU_DEP_2)
	v_rcp_f32_e32 v39, v33
	v_dual_mul_f32 v14, v24, v14 :: v_dual_fmac_f32 v29, v38, v27
	v_mul_f32_e32 v38, v36, v34
	s_waitcnt_depctr 0xfff
	v_fma_f32 v40, -v28, v37, 1.0
	v_fma_f32 v22, -v22, v29, v35
	v_mul_f32_e32 v26, v26, v6
	v_fma_f32 v35, -v30, v38, v36
	s_delay_alu instid0(VALU_DEP_4) | instskip(NEXT) | instid1(VALU_DEP_4)
	v_fmac_f32_e32 v37, v40, v37
	v_div_fmas_f32 v22, v22, v27, v29
	v_mul_f32_e32 v27, v6, v6
	v_fmac_f32_e32 v31, v6, v6
	v_mul_f32_e32 v6, v12, v6
	v_fmac_f32_e32 v38, v35, v34
	s_mov_b32 vcc_lo, s0
	v_fmac_f32_e32 v14, v11, v27
	v_fma_f32 v27, -v33, v39, 1.0
	v_fma_f32 v6, v7, v5, -v6
	v_add_f32_e32 v5, v12, v5
	v_div_scale_f32 v11, s1, v20, v25, v20
	v_mul_f32_e32 v14, v19, v14
	v_fmac_f32_e32 v39, v27, v39
	v_fma_f32 v19, -v30, v38, v36
	s_delay_alu instid0(VALU_DEP_4) | instskip(SKIP_2) | instid1(VALU_DEP_3)
	v_mul_f32_e32 v30, v11, v37
	v_mul_f32_e32 v6, v16, v6
	v_div_scale_f32 v27, null, v25, v25, v14
	v_fma_f32 v16, -v28, v30, v11
	s_delay_alu instid0(VALU_DEP_2) | instskip(SKIP_2) | instid1(VALU_DEP_3)
	v_rcp_f32_e32 v7, v27
	v_mul_f32_e32 v26, v31, v26
	v_div_scale_f32 v31, s2, v21, v17, v21
	v_fmac_f32_e32 v30, v16, v37
	s_delay_alu instid0(VALU_DEP_3) | instskip(SKIP_1) | instid1(VALU_DEP_3)
	v_div_scale_f32 v24, null, v32, v32, v26
	v_div_scale_f32 v36, s0, v26, v32, v26
	v_fma_f32 v11, -v28, v30, v11
	s_delay_alu instid0(VALU_DEP_3) | instskip(SKIP_2) | instid1(VALU_DEP_1)
	v_rcp_f32_e32 v29, v24
	s_waitcnt_depctr 0xfff
	v_fma_f32 v35, -v24, v29, 1.0
	v_fmac_f32_e32 v29, v35, v29
	s_delay_alu instid0(VALU_DEP_1)
	v_mul_f32_e32 v41, v36, v29
	v_div_fmas_f32 v19, v19, v34, v38
	s_mov_b32 vcc_lo, s1
	v_fma_f32 v38, -v27, v7, 1.0
	v_div_fmas_f32 v11, v11, v37, v30
	v_fma_f32 v12, -v24, v41, v36
	v_mul_f32_e32 v34, v31, v39
	s_mov_b32 vcc_lo, s2
	v_fmac_f32_e32 v7, v38, v7
	v_div_fixup_f32 v11, v11, v25, v20
	v_fmac_f32_e32 v41, v12, v29
	v_fma_f32 v16, -v33, v34, v31
	v_div_scale_f32 v38, s3, v14, v25, v14
	s_delay_alu instid0(VALU_DEP_4) | instskip(SKIP_1) | instid1(VALU_DEP_4)
	v_add_f32_e32 v5, v5, v11
	v_div_scale_f32 v35, null, v17, v17, v6
	v_fmac_f32_e32 v34, v16, v39
	v_fma_f32 v24, -v24, v41, v36
	s_delay_alu instid0(VALU_DEP_3) | instskip(NEXT) | instid1(VALU_DEP_2)
	v_rcp_f32_e32 v40, v35
	v_fma_f32 v30, -v33, v34, v31
	s_delay_alu instid0(VALU_DEP_1) | instskip(SKIP_3) | instid1(VALU_DEP_1)
	v_div_fmas_f32 v30, v30, v39, v34
	s_mov_b32 vcc_lo, s0
	s_waitcnt_depctr 0xfff
	v_fma_f32 v28, -v35, v40, 1.0
	v_fmac_f32_e32 v40, v28, v40
	v_div_scale_f32 v28, s1, v6, v17, v6
	s_delay_alu instid0(VALU_DEP_1) | instskip(NEXT) | instid1(VALU_DEP_1)
	v_dual_mul_f32 v16, v38, v7 :: v_dual_mul_f32 v31, v28, v40
	v_fma_f32 v12, -v27, v16, v38
	s_delay_alu instid0(VALU_DEP_1) | instskip(SKIP_3) | instid1(VALU_DEP_3)
	v_fmac_f32_e32 v16, v12, v7
	v_div_fmas_f32 v12, v24, v29, v41
	s_mov_b32 vcc_lo, s3
	v_fma_f32 v24, -v35, v31, v28
	v_fma_f32 v13, -v27, v16, v38
	s_delay_alu instid0(VALU_DEP_3) | instskip(NEXT) | instid1(VALU_DEP_2)
	v_div_fixup_f32 v12, v12, v32, v26
	v_div_fmas_f32 v7, v13, v7, v16
	s_mov_b32 vcc_lo, s1
	v_div_fixup_f32 v13, v19, v17, v23
	s_delay_alu instid0(VALU_DEP_3)
	v_add_f32_e32 v4, v4, v12
	v_div_fixup_f32 v12, v30, v17, v21
	v_div_fixup_f32 v7, v7, v25, v14
	;; [unrolled: 1-line block ×3, first 2 shown]
	v_fmac_f32_e32 v31, v24, v40
	v_add_f32_e32 v15, v15, v13
	v_add_f32_e32 v12, v12, v5
	;; [unrolled: 1-line block ×4, first 2 shown]
	v_fma_f32 v11, -v35, v31, v28
	v_mov_b32_e32 v7, v17
	s_delay_alu instid0(VALU_DEP_2) | instskip(SKIP_1) | instid1(VALU_DEP_2)
	v_div_fmas_f32 v11, v11, v40, v31
	v_cmp_lt_f32_e32 vcc_lo, v9, v3
	v_div_fixup_f32 v6, v11, v17, v6
	v_cndmask_b32_e32 v9, v9, v3, vcc_lo
	v_mov_b32_e32 v11, v15
	s_delay_alu instid0(VALU_DEP_3)
	v_add_f32_e32 v13, v6, v4
.LBB25_15:
	s_or_b32 exec_lo, exec_lo, s5
	v_cmp_gt_u32_e32 vcc_lo, 30, v1
	v_add_nc_u32_e32 v17, 2, v1
	s_mov_b32 s5, exec_lo
	s_waitcnt lgkmcnt(4)
	v_cndmask_b32_e64 v3, 0, 1, vcc_lo
	s_delay_alu instid0(VALU_DEP_1) | instskip(SKIP_1) | instid1(VALU_DEP_1)
	v_lshlrev_b32_e32 v3, 1, v3
	s_waitcnt lgkmcnt(0)
	v_add_lshl_u32 v4, v3, v1, 2
	ds_bpermute_b32 v6, v4, v7
	ds_bpermute_b32 v15, v4, v8
	;; [unrolled: 1-line block ×7, first 2 shown]
	v_cmpx_lt_u32_e64 v17, v2
	s_cbranch_execz .LBB25_17
; %bb.16:
	s_waitcnt lgkmcnt(3)
	v_sub_f32_e32 v16, v16, v10
	v_cmp_gt_f32_e32 vcc_lo, v8, v15
	s_waitcnt lgkmcnt(0)
	v_dual_add_f32 v17, v7, v6 :: v_dual_add_f32 v4, v13, v4
	s_delay_alu instid0(VALU_DEP_3) | instskip(NEXT) | instid1(VALU_DEP_2)
	v_dual_sub_f32 v20, v7, v6 :: v_dual_mul_f32 v19, v16, v16
	v_dual_cndmask_b32 v8, v8, v15 :: v_dual_mul_f32 v25, v17, v17
	s_delay_alu instid0(VALU_DEP_2) | instskip(SKIP_2) | instid1(VALU_DEP_3)
	v_dual_mul_f32 v23, v7, v19 :: v_dual_mul_f32 v18, v16, v6
	v_dual_add_f32 v15, v11, v14 :: v_dual_mul_f32 v26, v16, v19
	v_dual_mul_f32 v21, v11, v6 :: v_dual_mul_f32 v28, 0x40400000, v16
	v_div_scale_f32 v22, null, v17, v17, v18
	s_delay_alu instid0(VALU_DEP_4) | instskip(NEXT) | instid1(VALU_DEP_4)
	v_dual_mul_f32 v23, v23, v6 :: v_dual_mul_f32 v32, v17, v25
	v_mul_f32_e32 v29, v7, v26
	s_delay_alu instid0(VALU_DEP_3) | instskip(SKIP_1) | instid1(VALU_DEP_3)
	v_rcp_f32_e32 v27, v22
	v_div_scale_f32 v35, vcc_lo, v18, v17, v18
	v_div_scale_f32 v30, null, v17, v17, v23
	v_mul_f32_e32 v26, v16, v26
	v_mul_f32_e32 v16, 4.0, v16
	v_dual_mul_f32 v24, v7, v7 :: v_dual_mul_f32 v29, v29, v6
	s_delay_alu instid0(VALU_DEP_4) | instskip(NEXT) | instid1(TRANS32_DEP_2)
	v_rcp_f32_e32 v34, v30
	v_fma_f32 v33, -v22, v27, 1.0
	v_fma_f32 v21, v7, v14, -v21
	s_delay_alu instid0(VALU_DEP_3) | instskip(SKIP_4) | instid1(TRANS32_DEP_1)
	v_fma_f32 v31, -v7, v6, v24
	v_mul_f32_e32 v20, v20, v29
	v_div_scale_f32 v36, s0, v23, v17, v23
	v_fmac_f32_e32 v27, v33, v27
	v_mul_f32_e32 v19, 0x40c00000, v19
	v_fma_f32 v33, -v30, v34, 1.0
	v_mul_f32_e32 v21, v28, v21
	v_div_scale_f32 v28, null, v25, v25, v20
	s_delay_alu instid0(VALU_DEP_3) | instskip(NEXT) | instid1(VALU_DEP_3)
	v_dual_mul_f32 v29, v35, v27 :: v_dual_fmac_f32 v34, v33, v34
	v_div_scale_f32 v33, null, v17, v17, v21
	s_delay_alu instid0(VALU_DEP_3) | instskip(NEXT) | instid1(VALU_DEP_2)
	v_rcp_f32_e32 v37, v28
	v_fma_f32 v38, -v22, v29, v35
	v_mul_f32_e32 v26, v7, v26
	s_delay_alu instid0(VALU_DEP_3) | instskip(NEXT) | instid1(VALU_DEP_2)
	v_rcp_f32_e32 v39, v33
	v_dual_mul_f32 v14, v24, v14 :: v_dual_fmac_f32 v29, v38, v27
	v_mul_f32_e32 v38, v36, v34
	s_waitcnt_depctr 0xfff
	v_fma_f32 v40, -v28, v37, 1.0
	v_fma_f32 v22, -v22, v29, v35
	v_mul_f32_e32 v26, v26, v6
	v_fma_f32 v35, -v30, v38, v36
	s_delay_alu instid0(VALU_DEP_4) | instskip(NEXT) | instid1(VALU_DEP_4)
	v_fmac_f32_e32 v37, v40, v37
	v_div_fmas_f32 v22, v22, v27, v29
	v_mul_f32_e32 v27, v6, v6
	v_fmac_f32_e32 v31, v6, v6
	v_mul_f32_e32 v6, v12, v6
	v_fmac_f32_e32 v38, v35, v34
	s_mov_b32 vcc_lo, s0
	v_fmac_f32_e32 v14, v11, v27
	v_fma_f32 v27, -v33, v39, 1.0
	v_fma_f32 v6, v7, v5, -v6
	v_add_f32_e32 v5, v12, v5
	v_div_scale_f32 v11, s1, v20, v25, v20
	v_mul_f32_e32 v14, v19, v14
	v_fmac_f32_e32 v39, v27, v39
	v_fma_f32 v19, -v30, v38, v36
	s_delay_alu instid0(VALU_DEP_4) | instskip(SKIP_2) | instid1(VALU_DEP_3)
	v_mul_f32_e32 v30, v11, v37
	v_mul_f32_e32 v6, v16, v6
	v_div_scale_f32 v27, null, v25, v25, v14
	v_fma_f32 v16, -v28, v30, v11
	s_delay_alu instid0(VALU_DEP_2) | instskip(SKIP_2) | instid1(VALU_DEP_3)
	v_rcp_f32_e32 v7, v27
	v_mul_f32_e32 v26, v31, v26
	v_div_scale_f32 v31, s2, v21, v17, v21
	v_fmac_f32_e32 v30, v16, v37
	s_delay_alu instid0(VALU_DEP_3) | instskip(SKIP_1) | instid1(VALU_DEP_3)
	v_div_scale_f32 v24, null, v32, v32, v26
	v_div_scale_f32 v36, s0, v26, v32, v26
	v_fma_f32 v11, -v28, v30, v11
	s_delay_alu instid0(VALU_DEP_3) | instskip(SKIP_2) | instid1(VALU_DEP_1)
	v_rcp_f32_e32 v29, v24
	s_waitcnt_depctr 0xfff
	v_fma_f32 v35, -v24, v29, 1.0
	v_fmac_f32_e32 v29, v35, v29
	s_delay_alu instid0(VALU_DEP_1)
	v_mul_f32_e32 v41, v36, v29
	v_div_fmas_f32 v19, v19, v34, v38
	s_mov_b32 vcc_lo, s1
	v_fma_f32 v38, -v27, v7, 1.0
	v_div_fmas_f32 v11, v11, v37, v30
	v_fma_f32 v12, -v24, v41, v36
	v_mul_f32_e32 v34, v31, v39
	s_mov_b32 vcc_lo, s2
	v_fmac_f32_e32 v7, v38, v7
	v_div_fixup_f32 v11, v11, v25, v20
	v_fmac_f32_e32 v41, v12, v29
	v_fma_f32 v16, -v33, v34, v31
	v_div_scale_f32 v38, s3, v14, v25, v14
	s_delay_alu instid0(VALU_DEP_4) | instskip(SKIP_1) | instid1(VALU_DEP_4)
	v_add_f32_e32 v5, v5, v11
	v_div_scale_f32 v35, null, v17, v17, v6
	v_fmac_f32_e32 v34, v16, v39
	v_fma_f32 v24, -v24, v41, v36
	s_delay_alu instid0(VALU_DEP_3) | instskip(NEXT) | instid1(VALU_DEP_2)
	v_rcp_f32_e32 v40, v35
	v_fma_f32 v30, -v33, v34, v31
	s_delay_alu instid0(VALU_DEP_1) | instskip(SKIP_3) | instid1(VALU_DEP_1)
	v_div_fmas_f32 v30, v30, v39, v34
	s_mov_b32 vcc_lo, s0
	s_waitcnt_depctr 0xfff
	v_fma_f32 v28, -v35, v40, 1.0
	v_fmac_f32_e32 v40, v28, v40
	v_div_scale_f32 v28, s1, v6, v17, v6
	s_delay_alu instid0(VALU_DEP_1) | instskip(NEXT) | instid1(VALU_DEP_1)
	v_dual_mul_f32 v16, v38, v7 :: v_dual_mul_f32 v31, v28, v40
	v_fma_f32 v12, -v27, v16, v38
	s_delay_alu instid0(VALU_DEP_1) | instskip(SKIP_3) | instid1(VALU_DEP_3)
	v_fmac_f32_e32 v16, v12, v7
	v_div_fmas_f32 v12, v24, v29, v41
	s_mov_b32 vcc_lo, s3
	v_fma_f32 v24, -v35, v31, v28
	v_fma_f32 v13, -v27, v16, v38
	s_delay_alu instid0(VALU_DEP_3) | instskip(NEXT) | instid1(VALU_DEP_2)
	v_div_fixup_f32 v12, v12, v32, v26
	v_div_fmas_f32 v7, v13, v7, v16
	s_mov_b32 vcc_lo, s1
	v_div_fixup_f32 v13, v19, v17, v23
	s_delay_alu instid0(VALU_DEP_3)
	v_add_f32_e32 v4, v4, v12
	v_div_fixup_f32 v12, v30, v17, v21
	v_div_fixup_f32 v7, v7, v25, v14
	;; [unrolled: 1-line block ×3, first 2 shown]
	v_fmac_f32_e32 v31, v24, v40
	v_add_f32_e32 v15, v15, v13
	v_add_f32_e32 v12, v12, v5
	;; [unrolled: 1-line block ×4, first 2 shown]
	v_fma_f32 v11, -v35, v31, v28
	v_mov_b32_e32 v7, v17
	s_delay_alu instid0(VALU_DEP_2) | instskip(SKIP_1) | instid1(VALU_DEP_2)
	v_div_fmas_f32 v11, v11, v40, v31
	v_cmp_lt_f32_e32 vcc_lo, v9, v3
	v_div_fixup_f32 v6, v11, v17, v6
	v_cndmask_b32_e32 v9, v9, v3, vcc_lo
	v_mov_b32_e32 v11, v15
	s_delay_alu instid0(VALU_DEP_3)
	v_add_f32_e32 v13, v6, v4
.LBB25_17:
	s_or_b32 exec_lo, exec_lo, s5
	v_cmp_gt_u32_e32 vcc_lo, 28, v1
	v_add_nc_u32_e32 v17, 4, v1
	s_mov_b32 s5, exec_lo
	s_waitcnt lgkmcnt(4)
	v_cndmask_b32_e64 v3, 0, 1, vcc_lo
	s_delay_alu instid0(VALU_DEP_1) | instskip(SKIP_1) | instid1(VALU_DEP_1)
	v_lshlrev_b32_e32 v3, 2, v3
	s_waitcnt lgkmcnt(0)
	v_add_lshl_u32 v4, v3, v1, 2
	ds_bpermute_b32 v6, v4, v7
	ds_bpermute_b32 v15, v4, v8
	;; [unrolled: 1-line block ×7, first 2 shown]
	v_cmpx_lt_u32_e64 v17, v2
	s_cbranch_execz .LBB25_19
; %bb.18:
	s_waitcnt lgkmcnt(3)
	v_sub_f32_e32 v16, v16, v10
	v_cmp_gt_f32_e32 vcc_lo, v8, v15
	s_waitcnt lgkmcnt(0)
	v_dual_add_f32 v17, v7, v6 :: v_dual_add_f32 v4, v13, v4
	s_delay_alu instid0(VALU_DEP_3) | instskip(NEXT) | instid1(VALU_DEP_2)
	v_dual_sub_f32 v20, v7, v6 :: v_dual_mul_f32 v19, v16, v16
	v_dual_cndmask_b32 v8, v8, v15 :: v_dual_mul_f32 v25, v17, v17
	s_delay_alu instid0(VALU_DEP_2) | instskip(SKIP_2) | instid1(VALU_DEP_3)
	v_dual_mul_f32 v23, v7, v19 :: v_dual_mul_f32 v18, v16, v6
	v_dual_add_f32 v15, v11, v14 :: v_dual_mul_f32 v26, v16, v19
	v_dual_mul_f32 v21, v11, v6 :: v_dual_mul_f32 v28, 0x40400000, v16
	v_div_scale_f32 v22, null, v17, v17, v18
	s_delay_alu instid0(VALU_DEP_4) | instskip(NEXT) | instid1(VALU_DEP_4)
	v_dual_mul_f32 v23, v23, v6 :: v_dual_mul_f32 v32, v17, v25
	v_mul_f32_e32 v29, v7, v26
	s_delay_alu instid0(VALU_DEP_3) | instskip(SKIP_1) | instid1(VALU_DEP_3)
	v_rcp_f32_e32 v27, v22
	v_div_scale_f32 v35, vcc_lo, v18, v17, v18
	v_div_scale_f32 v30, null, v17, v17, v23
	v_mul_f32_e32 v26, v16, v26
	v_mul_f32_e32 v16, 4.0, v16
	v_dual_mul_f32 v24, v7, v7 :: v_dual_mul_f32 v29, v29, v6
	s_delay_alu instid0(VALU_DEP_4) | instskip(NEXT) | instid1(TRANS32_DEP_2)
	v_rcp_f32_e32 v34, v30
	v_fma_f32 v33, -v22, v27, 1.0
	v_fma_f32 v21, v7, v14, -v21
	s_delay_alu instid0(VALU_DEP_3) | instskip(SKIP_4) | instid1(TRANS32_DEP_1)
	v_fma_f32 v31, -v7, v6, v24
	v_mul_f32_e32 v20, v20, v29
	v_div_scale_f32 v36, s0, v23, v17, v23
	v_fmac_f32_e32 v27, v33, v27
	v_mul_f32_e32 v19, 0x40c00000, v19
	v_fma_f32 v33, -v30, v34, 1.0
	v_mul_f32_e32 v21, v28, v21
	v_div_scale_f32 v28, null, v25, v25, v20
	s_delay_alu instid0(VALU_DEP_3) | instskip(NEXT) | instid1(VALU_DEP_3)
	v_dual_mul_f32 v29, v35, v27 :: v_dual_fmac_f32 v34, v33, v34
	v_div_scale_f32 v33, null, v17, v17, v21
	s_delay_alu instid0(VALU_DEP_3) | instskip(NEXT) | instid1(VALU_DEP_2)
	v_rcp_f32_e32 v37, v28
	v_fma_f32 v38, -v22, v29, v35
	v_mul_f32_e32 v26, v7, v26
	s_delay_alu instid0(VALU_DEP_3) | instskip(NEXT) | instid1(VALU_DEP_2)
	v_rcp_f32_e32 v39, v33
	v_dual_mul_f32 v14, v24, v14 :: v_dual_fmac_f32 v29, v38, v27
	v_mul_f32_e32 v38, v36, v34
	s_waitcnt_depctr 0xfff
	v_fma_f32 v40, -v28, v37, 1.0
	v_fma_f32 v22, -v22, v29, v35
	v_mul_f32_e32 v26, v26, v6
	v_fma_f32 v35, -v30, v38, v36
	s_delay_alu instid0(VALU_DEP_4) | instskip(NEXT) | instid1(VALU_DEP_4)
	v_fmac_f32_e32 v37, v40, v37
	v_div_fmas_f32 v22, v22, v27, v29
	v_mul_f32_e32 v27, v6, v6
	v_fmac_f32_e32 v31, v6, v6
	v_mul_f32_e32 v6, v12, v6
	v_fmac_f32_e32 v38, v35, v34
	s_mov_b32 vcc_lo, s0
	v_fmac_f32_e32 v14, v11, v27
	v_fma_f32 v27, -v33, v39, 1.0
	v_fma_f32 v6, v7, v5, -v6
	v_add_f32_e32 v5, v12, v5
	v_div_scale_f32 v11, s1, v20, v25, v20
	v_mul_f32_e32 v14, v19, v14
	v_fmac_f32_e32 v39, v27, v39
	v_fma_f32 v19, -v30, v38, v36
	s_delay_alu instid0(VALU_DEP_4) | instskip(SKIP_2) | instid1(VALU_DEP_3)
	v_mul_f32_e32 v30, v11, v37
	v_mul_f32_e32 v6, v16, v6
	v_div_scale_f32 v27, null, v25, v25, v14
	v_fma_f32 v16, -v28, v30, v11
	s_delay_alu instid0(VALU_DEP_2) | instskip(SKIP_2) | instid1(VALU_DEP_3)
	v_rcp_f32_e32 v7, v27
	v_mul_f32_e32 v26, v31, v26
	v_div_scale_f32 v31, s2, v21, v17, v21
	v_fmac_f32_e32 v30, v16, v37
	s_delay_alu instid0(VALU_DEP_3) | instskip(SKIP_1) | instid1(VALU_DEP_3)
	v_div_scale_f32 v24, null, v32, v32, v26
	v_div_scale_f32 v36, s0, v26, v32, v26
	v_fma_f32 v11, -v28, v30, v11
	s_delay_alu instid0(VALU_DEP_3) | instskip(SKIP_2) | instid1(VALU_DEP_1)
	v_rcp_f32_e32 v29, v24
	s_waitcnt_depctr 0xfff
	v_fma_f32 v35, -v24, v29, 1.0
	v_fmac_f32_e32 v29, v35, v29
	s_delay_alu instid0(VALU_DEP_1)
	v_mul_f32_e32 v41, v36, v29
	v_div_fmas_f32 v19, v19, v34, v38
	s_mov_b32 vcc_lo, s1
	v_fma_f32 v38, -v27, v7, 1.0
	v_div_fmas_f32 v11, v11, v37, v30
	v_fma_f32 v12, -v24, v41, v36
	v_mul_f32_e32 v34, v31, v39
	s_mov_b32 vcc_lo, s2
	v_fmac_f32_e32 v7, v38, v7
	v_div_fixup_f32 v11, v11, v25, v20
	v_fmac_f32_e32 v41, v12, v29
	v_fma_f32 v16, -v33, v34, v31
	v_div_scale_f32 v38, s3, v14, v25, v14
	s_delay_alu instid0(VALU_DEP_4) | instskip(SKIP_1) | instid1(VALU_DEP_4)
	v_add_f32_e32 v5, v5, v11
	v_div_scale_f32 v35, null, v17, v17, v6
	v_fmac_f32_e32 v34, v16, v39
	v_fma_f32 v24, -v24, v41, v36
	s_delay_alu instid0(VALU_DEP_3) | instskip(NEXT) | instid1(VALU_DEP_2)
	v_rcp_f32_e32 v40, v35
	v_fma_f32 v30, -v33, v34, v31
	s_delay_alu instid0(VALU_DEP_1) | instskip(SKIP_3) | instid1(VALU_DEP_1)
	v_div_fmas_f32 v30, v30, v39, v34
	s_mov_b32 vcc_lo, s0
	s_waitcnt_depctr 0xfff
	v_fma_f32 v28, -v35, v40, 1.0
	v_fmac_f32_e32 v40, v28, v40
	v_div_scale_f32 v28, s1, v6, v17, v6
	s_delay_alu instid0(VALU_DEP_1) | instskip(NEXT) | instid1(VALU_DEP_1)
	v_dual_mul_f32 v16, v38, v7 :: v_dual_mul_f32 v31, v28, v40
	v_fma_f32 v12, -v27, v16, v38
	s_delay_alu instid0(VALU_DEP_1) | instskip(SKIP_3) | instid1(VALU_DEP_3)
	v_fmac_f32_e32 v16, v12, v7
	v_div_fmas_f32 v12, v24, v29, v41
	s_mov_b32 vcc_lo, s3
	v_fma_f32 v24, -v35, v31, v28
	v_fma_f32 v13, -v27, v16, v38
	s_delay_alu instid0(VALU_DEP_3) | instskip(NEXT) | instid1(VALU_DEP_2)
	v_div_fixup_f32 v12, v12, v32, v26
	v_div_fmas_f32 v7, v13, v7, v16
	s_mov_b32 vcc_lo, s1
	v_div_fixup_f32 v13, v19, v17, v23
	s_delay_alu instid0(VALU_DEP_3)
	v_add_f32_e32 v4, v4, v12
	v_div_fixup_f32 v12, v30, v17, v21
	v_div_fixup_f32 v7, v7, v25, v14
	;; [unrolled: 1-line block ×3, first 2 shown]
	v_fmac_f32_e32 v31, v24, v40
	v_add_f32_e32 v15, v15, v13
	v_add_f32_e32 v12, v12, v5
	v_add_f32_e32 v4, v7, v4
	v_add_f32_e32 v10, v10, v14
	v_fma_f32 v11, -v35, v31, v28
	v_mov_b32_e32 v7, v17
	s_delay_alu instid0(VALU_DEP_2) | instskip(SKIP_1) | instid1(VALU_DEP_2)
	v_div_fmas_f32 v11, v11, v40, v31
	v_cmp_lt_f32_e32 vcc_lo, v9, v3
	v_div_fixup_f32 v6, v11, v17, v6
	v_cndmask_b32_e32 v9, v9, v3, vcc_lo
	v_mov_b32_e32 v11, v15
	s_delay_alu instid0(VALU_DEP_3)
	v_add_f32_e32 v13, v6, v4
.LBB25_19:
	s_or_b32 exec_lo, exec_lo, s5
	v_cmp_gt_u32_e32 vcc_lo, 24, v1
	v_add_nc_u32_e32 v17, 8, v1
	s_mov_b32 s5, exec_lo
	s_waitcnt lgkmcnt(4)
	v_cndmask_b32_e64 v3, 0, 1, vcc_lo
	s_delay_alu instid0(VALU_DEP_1) | instskip(SKIP_1) | instid1(VALU_DEP_1)
	v_lshlrev_b32_e32 v3, 3, v3
	s_waitcnt lgkmcnt(0)
	v_add_lshl_u32 v4, v3, v1, 2
	ds_bpermute_b32 v6, v4, v7
	ds_bpermute_b32 v15, v4, v8
	;; [unrolled: 1-line block ×7, first 2 shown]
	v_cmpx_lt_u32_e64 v17, v2
	s_cbranch_execz .LBB25_21
; %bb.20:
	s_waitcnt lgkmcnt(3)
	v_sub_f32_e32 v16, v16, v10
	v_cmp_gt_f32_e32 vcc_lo, v8, v15
	s_waitcnt lgkmcnt(0)
	v_dual_add_f32 v17, v7, v6 :: v_dual_add_f32 v4, v13, v4
	s_delay_alu instid0(VALU_DEP_3) | instskip(NEXT) | instid1(VALU_DEP_2)
	v_dual_sub_f32 v20, v7, v6 :: v_dual_mul_f32 v19, v16, v16
	v_dual_cndmask_b32 v8, v8, v15 :: v_dual_mul_f32 v25, v17, v17
	s_delay_alu instid0(VALU_DEP_2) | instskip(SKIP_2) | instid1(VALU_DEP_3)
	v_dual_mul_f32 v23, v7, v19 :: v_dual_mul_f32 v18, v16, v6
	v_dual_add_f32 v15, v11, v14 :: v_dual_mul_f32 v26, v16, v19
	v_dual_mul_f32 v21, v11, v6 :: v_dual_mul_f32 v28, 0x40400000, v16
	v_div_scale_f32 v22, null, v17, v17, v18
	s_delay_alu instid0(VALU_DEP_4) | instskip(NEXT) | instid1(VALU_DEP_4)
	v_dual_mul_f32 v23, v23, v6 :: v_dual_mul_f32 v32, v17, v25
	v_mul_f32_e32 v29, v7, v26
	s_delay_alu instid0(VALU_DEP_3) | instskip(SKIP_1) | instid1(VALU_DEP_3)
	v_rcp_f32_e32 v27, v22
	v_div_scale_f32 v35, vcc_lo, v18, v17, v18
	v_div_scale_f32 v30, null, v17, v17, v23
	v_mul_f32_e32 v26, v16, v26
	v_mul_f32_e32 v16, 4.0, v16
	v_dual_mul_f32 v24, v7, v7 :: v_dual_mul_f32 v29, v29, v6
	s_delay_alu instid0(VALU_DEP_4) | instskip(NEXT) | instid1(TRANS32_DEP_2)
	v_rcp_f32_e32 v34, v30
	v_fma_f32 v33, -v22, v27, 1.0
	v_fma_f32 v21, v7, v14, -v21
	s_delay_alu instid0(VALU_DEP_3) | instskip(SKIP_4) | instid1(TRANS32_DEP_1)
	v_fma_f32 v31, -v7, v6, v24
	v_mul_f32_e32 v20, v20, v29
	v_div_scale_f32 v36, s0, v23, v17, v23
	v_fmac_f32_e32 v27, v33, v27
	v_mul_f32_e32 v19, 0x40c00000, v19
	v_fma_f32 v33, -v30, v34, 1.0
	v_mul_f32_e32 v21, v28, v21
	v_div_scale_f32 v28, null, v25, v25, v20
	s_delay_alu instid0(VALU_DEP_3) | instskip(NEXT) | instid1(VALU_DEP_3)
	v_dual_mul_f32 v29, v35, v27 :: v_dual_fmac_f32 v34, v33, v34
	v_div_scale_f32 v33, null, v17, v17, v21
	s_delay_alu instid0(VALU_DEP_3) | instskip(NEXT) | instid1(VALU_DEP_2)
	v_rcp_f32_e32 v37, v28
	v_fma_f32 v38, -v22, v29, v35
	v_mul_f32_e32 v26, v7, v26
	s_delay_alu instid0(VALU_DEP_3) | instskip(NEXT) | instid1(VALU_DEP_2)
	v_rcp_f32_e32 v39, v33
	v_dual_mul_f32 v14, v24, v14 :: v_dual_fmac_f32 v29, v38, v27
	v_mul_f32_e32 v38, v36, v34
	s_waitcnt_depctr 0xfff
	v_fma_f32 v40, -v28, v37, 1.0
	v_fma_f32 v22, -v22, v29, v35
	v_mul_f32_e32 v26, v26, v6
	v_fma_f32 v35, -v30, v38, v36
	s_delay_alu instid0(VALU_DEP_4) | instskip(NEXT) | instid1(VALU_DEP_4)
	v_fmac_f32_e32 v37, v40, v37
	v_div_fmas_f32 v22, v22, v27, v29
	v_mul_f32_e32 v27, v6, v6
	v_fmac_f32_e32 v31, v6, v6
	v_mul_f32_e32 v6, v12, v6
	v_fmac_f32_e32 v38, v35, v34
	s_mov_b32 vcc_lo, s0
	v_fmac_f32_e32 v14, v11, v27
	v_fma_f32 v27, -v33, v39, 1.0
	v_fma_f32 v6, v7, v5, -v6
	v_add_f32_e32 v5, v12, v5
	v_div_scale_f32 v11, s1, v20, v25, v20
	v_mul_f32_e32 v14, v19, v14
	v_fmac_f32_e32 v39, v27, v39
	v_fma_f32 v19, -v30, v38, v36
	s_delay_alu instid0(VALU_DEP_4) | instskip(SKIP_2) | instid1(VALU_DEP_3)
	v_mul_f32_e32 v30, v11, v37
	v_mul_f32_e32 v6, v16, v6
	v_div_scale_f32 v27, null, v25, v25, v14
	v_fma_f32 v16, -v28, v30, v11
	s_delay_alu instid0(VALU_DEP_2) | instskip(SKIP_2) | instid1(VALU_DEP_3)
	v_rcp_f32_e32 v7, v27
	v_mul_f32_e32 v26, v31, v26
	v_div_scale_f32 v31, s2, v21, v17, v21
	v_fmac_f32_e32 v30, v16, v37
	s_delay_alu instid0(VALU_DEP_3) | instskip(SKIP_1) | instid1(VALU_DEP_3)
	v_div_scale_f32 v24, null, v32, v32, v26
	v_div_scale_f32 v36, s0, v26, v32, v26
	v_fma_f32 v11, -v28, v30, v11
	s_delay_alu instid0(VALU_DEP_3) | instskip(SKIP_2) | instid1(VALU_DEP_1)
	v_rcp_f32_e32 v29, v24
	s_waitcnt_depctr 0xfff
	v_fma_f32 v35, -v24, v29, 1.0
	v_fmac_f32_e32 v29, v35, v29
	s_delay_alu instid0(VALU_DEP_1)
	v_mul_f32_e32 v41, v36, v29
	v_div_fmas_f32 v19, v19, v34, v38
	s_mov_b32 vcc_lo, s1
	v_fma_f32 v38, -v27, v7, 1.0
	v_div_fmas_f32 v11, v11, v37, v30
	v_fma_f32 v12, -v24, v41, v36
	v_mul_f32_e32 v34, v31, v39
	s_mov_b32 vcc_lo, s2
	v_fmac_f32_e32 v7, v38, v7
	v_div_fixup_f32 v11, v11, v25, v20
	v_fmac_f32_e32 v41, v12, v29
	v_fma_f32 v16, -v33, v34, v31
	v_div_scale_f32 v38, s3, v14, v25, v14
	s_delay_alu instid0(VALU_DEP_4) | instskip(SKIP_1) | instid1(VALU_DEP_4)
	v_add_f32_e32 v5, v5, v11
	v_div_scale_f32 v35, null, v17, v17, v6
	v_fmac_f32_e32 v34, v16, v39
	v_fma_f32 v24, -v24, v41, v36
	s_delay_alu instid0(VALU_DEP_3) | instskip(NEXT) | instid1(VALU_DEP_2)
	v_rcp_f32_e32 v40, v35
	v_fma_f32 v30, -v33, v34, v31
	s_delay_alu instid0(VALU_DEP_1) | instskip(SKIP_3) | instid1(VALU_DEP_1)
	v_div_fmas_f32 v30, v30, v39, v34
	s_mov_b32 vcc_lo, s0
	s_waitcnt_depctr 0xfff
	v_fma_f32 v28, -v35, v40, 1.0
	v_fmac_f32_e32 v40, v28, v40
	v_div_scale_f32 v28, s1, v6, v17, v6
	s_delay_alu instid0(VALU_DEP_1) | instskip(NEXT) | instid1(VALU_DEP_1)
	v_dual_mul_f32 v16, v38, v7 :: v_dual_mul_f32 v31, v28, v40
	v_fma_f32 v12, -v27, v16, v38
	s_delay_alu instid0(VALU_DEP_1) | instskip(SKIP_3) | instid1(VALU_DEP_3)
	v_fmac_f32_e32 v16, v12, v7
	v_div_fmas_f32 v12, v24, v29, v41
	s_mov_b32 vcc_lo, s3
	v_fma_f32 v24, -v35, v31, v28
	v_fma_f32 v13, -v27, v16, v38
	s_delay_alu instid0(VALU_DEP_3) | instskip(NEXT) | instid1(VALU_DEP_2)
	v_div_fixup_f32 v12, v12, v32, v26
	v_div_fmas_f32 v7, v13, v7, v16
	s_mov_b32 vcc_lo, s1
	v_div_fixup_f32 v13, v19, v17, v23
	s_delay_alu instid0(VALU_DEP_3)
	v_add_f32_e32 v4, v4, v12
	v_div_fixup_f32 v12, v30, v17, v21
	v_div_fixup_f32 v7, v7, v25, v14
	;; [unrolled: 1-line block ×3, first 2 shown]
	v_fmac_f32_e32 v31, v24, v40
	v_add_f32_e32 v15, v15, v13
	v_add_f32_e32 v12, v12, v5
	;; [unrolled: 1-line block ×4, first 2 shown]
	v_fma_f32 v11, -v35, v31, v28
	v_mov_b32_e32 v7, v17
	s_delay_alu instid0(VALU_DEP_2) | instskip(SKIP_1) | instid1(VALU_DEP_2)
	v_div_fmas_f32 v11, v11, v40, v31
	v_cmp_lt_f32_e32 vcc_lo, v9, v3
	v_div_fixup_f32 v6, v11, v17, v6
	v_cndmask_b32_e32 v9, v9, v3, vcc_lo
	v_mov_b32_e32 v11, v15
	s_delay_alu instid0(VALU_DEP_3)
	v_add_f32_e32 v13, v6, v4
.LBB25_21:
	s_or_b32 exec_lo, exec_lo, s5
	v_cmp_gt_u32_e32 vcc_lo, 16, v1
	v_add_nc_u32_e32 v17, 16, v1
	s_mov_b32 s5, exec_lo
	s_waitcnt lgkmcnt(4)
	v_cndmask_b32_e64 v3, 0, 1, vcc_lo
	s_delay_alu instid0(VALU_DEP_1) | instskip(SKIP_1) | instid1(VALU_DEP_1)
	v_lshlrev_b32_e32 v3, 4, v3
	s_waitcnt lgkmcnt(0)
	v_add_lshl_u32 v4, v3, v1, 2
	ds_bpermute_b32 v6, v4, v7
	ds_bpermute_b32 v15, v4, v8
	;; [unrolled: 1-line block ×7, first 2 shown]
	v_cmpx_lt_u32_e64 v17, v2
	s_cbranch_execz .LBB25_23
; %bb.22:
	s_waitcnt lgkmcnt(3)
	v_dual_sub_f32 v2, v16, v10 :: v_dual_mul_f32 v23, v7, v7
	v_sub_f32_e32 v19, v7, v6
	v_cmp_gt_f32_e32 vcc_lo, v8, v15
	s_waitcnt lgkmcnt(0)
	v_add_f32_e32 v4, v13, v4
	v_mul_f32_e32 v18, v2, v2
	v_mul_f32_e32 v27, 0x40400000, v2
	v_fma_f32 v30, -v7, v6, v23
	v_dual_cndmask_b32 v8, v8, v15 :: v_dual_add_f32 v15, v11, v14
	s_delay_alu instid0(VALU_DEP_4) | instskip(SKIP_1) | instid1(VALU_DEP_4)
	v_mul_f32_e32 v25, v2, v18
	v_add_f32_e32 v16, v7, v6
	v_fmac_f32_e32 v30, v6, v6
	s_delay_alu instid0(VALU_DEP_3) | instskip(SKIP_1) | instid1(VALU_DEP_4)
	v_mul_f32_e32 v28, v7, v25
	v_mul_f32_e32 v25, v2, v25
	v_dual_mul_f32 v17, v2, v6 :: v_dual_mul_f32 v24, v16, v16
	v_mul_f32_e32 v2, 4.0, v2
	s_delay_alu instid0(VALU_DEP_3) | instskip(NEXT) | instid1(VALU_DEP_3)
	v_dual_mul_f32 v28, v28, v6 :: v_dual_mul_f32 v25, v7, v25
	v_div_scale_f32 v21, null, v16, v16, v17
	s_delay_alu instid0(VALU_DEP_4) | instskip(NEXT) | instid1(VALU_DEP_3)
	v_dual_mul_f32 v31, v16, v24 :: v_dual_mul_f32 v22, v7, v18
	v_mul_f32_e32 v19, v19, v28
	s_delay_alu instid0(VALU_DEP_3) | instskip(SKIP_1) | instid1(VALU_DEP_3)
	v_rcp_f32_e32 v26, v21
	v_div_scale_f32 v34, vcc_lo, v17, v16, v17
	v_mul_f32_e32 v22, v22, v6
	s_delay_alu instid0(VALU_DEP_1) | instskip(SKIP_4) | instid1(VALU_DEP_2)
	v_div_scale_f32 v29, null, v16, v16, v22
	s_waitcnt_depctr 0xfff
	v_fma_f32 v32, -v21, v26, 1.0
	v_div_scale_f32 v35, s0, v22, v16, v22
	v_rcp_f32_e32 v33, v29
	v_fmac_f32_e32 v26, v32, v26
	s_waitcnt_depctr 0xfff
	v_fma_f32 v32, -v29, v33, 1.0
	s_delay_alu instid0(VALU_DEP_1) | instskip(NEXT) | instid1(VALU_DEP_1)
	v_dual_mul_f32 v20, v11, v6 :: v_dual_fmac_f32 v33, v32, v33
	v_fma_f32 v20, v7, v14, -v20
	s_delay_alu instid0(VALU_DEP_1) | instskip(SKIP_1) | instid1(VALU_DEP_2)
	v_mul_f32_e32 v20, v27, v20
	v_div_scale_f32 v27, null, v24, v24, v19
	v_div_scale_f32 v32, null, v16, v16, v20
	s_delay_alu instid0(VALU_DEP_2) | instskip(NEXT) | instid1(VALU_DEP_1)
	v_rcp_f32_e32 v36, v27
	v_rcp_f32_e32 v38, v32
	s_waitcnt_depctr 0xfff
	v_fma_f32 v39, -v27, v36, 1.0
	s_delay_alu instid0(VALU_DEP_1) | instskip(SKIP_1) | instid1(VALU_DEP_2)
	v_dual_mul_f32 v25, v25, v6 :: v_dual_fmac_f32 v36, v39, v36
	v_mul_f32_e32 v28, v34, v26
	v_dual_mul_f32 v25, v30, v25 :: v_dual_mul_f32 v14, v23, v14
	v_div_scale_f32 v30, s2, v20, v16, v20
	s_delay_alu instid0(VALU_DEP_3) | instskip(NEXT) | instid1(VALU_DEP_3)
	v_fma_f32 v37, -v21, v28, v34
	v_div_scale_f32 v23, null, v31, v31, v25
	s_delay_alu instid0(VALU_DEP_2) | instskip(NEXT) | instid1(VALU_DEP_1)
	v_dual_fmac_f32 v28, v37, v26 :: v_dual_mul_f32 v37, v35, v33
	v_fma_f32 v21, -v21, v28, v34
	s_delay_alu instid0(VALU_DEP_2) | instskip(NEXT) | instid1(VALU_DEP_2)
	v_fma_f32 v34, -v29, v37, v35
	v_div_fmas_f32 v21, v21, v26, v28
	v_mul_f32_e32 v26, v6, v6
	v_rcp_f32_e32 v28, v23
	s_delay_alu instid0(VALU_DEP_3) | instskip(SKIP_1) | instid1(VALU_DEP_1)
	v_dual_mul_f32 v6, v12, v6 :: v_dual_fmac_f32 v37, v34, v33
	s_mov_b32 vcc_lo, s0
	v_fma_f32 v6, v7, v5, -v6
	v_dual_add_f32 v5, v12, v5 :: v_dual_fmac_f32 v14, v11, v26
	v_fma_f32 v26, -v32, v38, 1.0
	s_waitcnt_depctr 0xfff
	v_fma_f32 v34, -v23, v28, 1.0
	v_mul_f32_e32 v2, v2, v6
	v_div_scale_f32 v11, s1, v19, v24, v19
	v_fmac_f32_e32 v38, v26, v38
	s_delay_alu instid0(VALU_DEP_4) | instskip(NEXT) | instid1(VALU_DEP_4)
	v_fmac_f32_e32 v28, v34, v28
	v_div_scale_f32 v34, null, v16, v16, v2
	s_delay_alu instid0(VALU_DEP_1) | instskip(SKIP_1) | instid1(VALU_DEP_1)
	v_rcp_f32_e32 v39, v34
	v_mul_f32_e32 v18, 0x40c00000, v18
	v_mul_f32_e32 v14, v18, v14
	v_fma_f32 v18, -v29, v37, v35
	v_mul_f32_e32 v29, v11, v36
	v_div_scale_f32 v35, s0, v25, v31, v25
	s_delay_alu instid0(VALU_DEP_4) | instskip(NEXT) | instid1(VALU_DEP_4)
	v_div_scale_f32 v26, null, v24, v24, v14
	v_div_fmas_f32 v18, v18, v33, v37
	s_delay_alu instid0(VALU_DEP_4) | instskip(NEXT) | instid1(VALU_DEP_4)
	v_fma_f32 v6, -v27, v29, v11
	v_dual_mul_f32 v33, v30, v38 :: v_dual_mul_f32 v40, v35, v28
	s_delay_alu instid0(VALU_DEP_4) | instskip(SKIP_1) | instid1(VALU_DEP_2)
	v_rcp_f32_e32 v7, v26
	s_mov_b32 vcc_lo, s1
	v_fmac_f32_e32 v29, v6, v36
	s_delay_alu instid0(VALU_DEP_2) | instskip(NEXT) | instid1(VALU_DEP_2)
	v_fma_f32 v6, -v32, v33, v30
	v_fma_f32 v11, -v27, v29, v11
	v_fma_f32 v27, -v34, v39, 1.0
	s_waitcnt_depctr 0xfff
	v_fma_f32 v37, -v26, v7, 1.0
	v_div_fmas_f32 v11, v11, v36, v29
	v_fmac_f32_e32 v39, v27, v39
	v_div_scale_f32 v27, s1, v2, v16, v2
	s_delay_alu instid0(VALU_DEP_4) | instskip(SKIP_4) | instid1(VALU_DEP_3)
	v_fmac_f32_e32 v7, v37, v7
	v_div_scale_f32 v37, s3, v14, v24, v14
	v_fmac_f32_e32 v33, v6, v38
	v_fma_f32 v6, -v23, v40, v35
	s_mov_b32 vcc_lo, s2
	v_mul_f32_e32 v12, v37, v7
	v_div_fixup_f32 v11, v11, v24, v19
	v_fma_f32 v29, -v32, v33, v30
	v_fmac_f32_e32 v40, v6, v28
	v_mul_f32_e32 v30, v27, v39
	v_fma_f32 v6, -v26, v12, v37
	v_add_f32_e32 v5, v5, v11
	v_div_fmas_f32 v29, v29, v38, v33
	v_fma_f32 v23, -v23, v40, v35
	s_mov_b32 vcc_lo, s0
	v_fmac_f32_e32 v12, v6, v7
	s_delay_alu instid0(VALU_DEP_2) | instskip(SKIP_1) | instid1(VALU_DEP_3)
	v_div_fmas_f32 v6, v23, v28, v40
	v_fma_f32 v23, -v34, v30, v27
	v_fma_f32 v13, -v26, v12, v37
	s_mov_b32 vcc_lo, s3
	s_delay_alu instid0(VALU_DEP_3) | instskip(NEXT) | instid1(VALU_DEP_3)
	v_div_fixup_f32 v6, v6, v31, v25
	v_fmac_f32_e32 v30, v23, v39
	s_delay_alu instid0(VALU_DEP_3)
	v_div_fmas_f32 v7, v13, v7, v12
	s_mov_b32 vcc_lo, s1
	v_div_fixup_f32 v12, v18, v16, v22
	v_add_f32_e32 v4, v4, v6
	v_fma_f32 v11, -v34, v30, v27
	v_div_fixup_f32 v6, v7, v24, v14
	v_div_fixup_f32 v13, v21, v16, v17
	v_add_f32_e32 v14, v15, v12
	s_delay_alu instid0(VALU_DEP_4)
	v_div_fmas_f32 v7, v11, v39, v30
	v_div_fixup_f32 v11, v29, v16, v20
	v_add_f32_e32 v4, v6, v4
	v_cmp_lt_f32_e32 vcc_lo, v9, v3
	v_add_f32_e32 v10, v10, v13
	v_div_fixup_f32 v2, v7, v16, v2
	v_dual_add_f32 v12, v11, v5 :: v_dual_mov_b32 v11, v14
	v_cndmask_b32_e32 v9, v9, v3, vcc_lo
	v_mov_b32_e32 v7, v16
	s_delay_alu instid0(VALU_DEP_4)
	v_add_f32_e32 v13, v2, v4
.LBB25_23:
	s_or_b32 exec_lo, exec_lo, s5
	s_delay_alu instid0(SALU_CYCLE_1)
	s_mov_b32 s0, exec_lo
	v_cmpx_eq_u32_e32 0, v1
	s_cbranch_execz .LBB25_25
; %bb.24:
	v_lshrrev_b32_e32 v2, 5, v0
	s_delay_alu instid0(VALU_DEP_1)
	v_mul_u32_u24_e32 v2, 28, v2
	ds_store_2addr_b32 v2, v7, v8 offset1:1
	ds_store_2addr_b32 v2, v9, v10 offset0:2 offset1:3
	ds_store_2addr_b32 v2, v11, v12 offset0:4 offset1:5
	ds_store_b32 v2, v13 offset:24
.LBB25_25:
	s_or_b32 exec_lo, exec_lo, s0
	s_delay_alu instid0(SALU_CYCLE_1)
	s_mov_b32 s5, exec_lo
	s_waitcnt lgkmcnt(0)
	s_barrier
	buffer_gl0_inv
	v_cmpx_gt_u32_e32 8, v0
	s_cbranch_execz .LBB25_33
; %bb.26:
	v_mul_u32_u24_e32 v3, 28, v1
	s_add_i32 s4, s4, 31
	ds_load_2addr_b32 v[7:8], v3 offset1:1
	ds_load_2addr_b32 v[9:10], v3 offset0:2 offset1:3
	ds_load_2addr_b32 v[11:12], v3 offset0:4 offset1:5
	ds_load_b32 v13, v3 offset:24
	v_and_b32_e32 v2, 7, v1
	s_lshr_b32 s4, s4, 5
	s_waitcnt lgkmcnt(1)
	v_mov_b32_e32 v17, v12
	s_delay_alu instid0(VALU_DEP_2) | instskip(SKIP_2) | instid1(VALU_DEP_1)
	v_cmp_ne_u32_e32 vcc_lo, 7, v2
	v_mov_b32_e32 v16, v11
	v_add_co_ci_u32_e32 v3, vcc_lo, 0, v1, vcc_lo
	v_lshlrev_b32_e32 v3, 2, v3
	ds_bpermute_b32 v14, v3, v7
	ds_bpermute_b32 v18, v3, v8
	;; [unrolled: 1-line block ×6, first 2 shown]
	s_waitcnt lgkmcnt(6)
	ds_bpermute_b32 v5, v3, v13
	v_add_nc_u32_e32 v3, 1, v2
	s_delay_alu instid0(VALU_DEP_1)
	v_cmp_gt_u32_e32 vcc_lo, s4, v3
	v_mov_b32_e32 v3, v7
	s_and_saveexec_b32 s19, vcc_lo
	s_cbranch_execz .LBB25_28
; %bb.27:
	s_waitcnt lgkmcnt(3)
	v_sub_f32_e32 v16, v19, v10
	v_cmp_gt_f32_e32 vcc_lo, v8, v18
	v_add_f32_e32 v3, v7, v14
	s_waitcnt lgkmcnt(2)
	v_add_f32_e32 v17, v11, v15
	s_waitcnt lgkmcnt(0)
	v_dual_sub_f32 v20, v7, v14 :: v_dual_add_f32 v5, v13, v5
	v_cndmask_b32_e32 v8, v8, v18, vcc_lo
	v_mul_f32_e32 v18, v16, v14
	s_delay_alu instid0(VALU_DEP_1) | instskip(NEXT) | instid1(VALU_DEP_1)
	v_div_scale_f32 v22, null, v3, v3, v18
	v_rcp_f32_e32 v27, v22
	s_waitcnt_depctr 0xfff
	v_fma_f32 v33, -v22, v27, 1.0
	s_delay_alu instid0(VALU_DEP_1) | instskip(SKIP_2) | instid1(VALU_DEP_2)
	v_fmac_f32_e32 v27, v33, v27
	v_mul_f32_e32 v19, v16, v16
	v_dual_mul_f32 v21, v11, v14 :: v_dual_mul_f32 v28, 0x40400000, v16
	v_mul_f32_e32 v23, v7, v19
	v_mul_f32_e32 v26, v16, v19
	v_div_scale_f32 v35, vcc_lo, v18, v3, v18
	s_delay_alu instid0(VALU_DEP_4) | instskip(NEXT) | instid1(VALU_DEP_4)
	v_fma_f32 v21, v7, v15, -v21
	v_mul_f32_e32 v23, v23, v14
	s_delay_alu instid0(VALU_DEP_4)
	v_mul_f32_e32 v29, v7, v26
	v_mul_f32_e32 v26, v16, v26
	v_mul_f32_e32 v16, 4.0, v16
	v_mul_f32_e32 v24, v7, v7
	v_div_scale_f32 v30, null, v3, v3, v23
	v_mul_f32_e32 v29, v29, v14
	v_mul_f32_e32 v25, v3, v3
	v_div_scale_f32 v36, s0, v23, v3, v23
	s_delay_alu instid0(VALU_DEP_4) | instskip(NEXT) | instid1(VALU_DEP_3)
	v_rcp_f32_e32 v34, v30
	v_dual_mul_f32 v20, v20, v29 :: v_dual_mul_f32 v29, v35, v27
	v_fma_f32 v31, -v7, v14, v24
	v_dual_mul_f32 v26, v7, v26 :: v_dual_mul_f32 v15, v24, v15
	v_mul_f32_e32 v19, 0x40c00000, v19
	s_delay_alu instid0(VALU_DEP_4) | instskip(SKIP_1) | instid1(TRANS32_DEP_1)
	v_fma_f32 v38, -v22, v29, v35
	v_mul_f32_e32 v32, v3, v25
	v_fma_f32 v33, -v30, v34, 1.0
	v_mul_f32_e32 v21, v28, v21
	v_div_scale_f32 v28, null, v25, v25, v20
	s_delay_alu instid0(VALU_DEP_3) | instskip(NEXT) | instid1(VALU_DEP_3)
	v_dual_fmac_f32 v29, v38, v27 :: v_dual_fmac_f32 v34, v33, v34
	v_div_scale_f32 v33, null, v3, v3, v21
	s_delay_alu instid0(VALU_DEP_3) | instskip(NEXT) | instid1(VALU_DEP_2)
	v_rcp_f32_e32 v37, v28
	v_fma_f32 v22, -v22, v29, v35
	s_delay_alu instid0(VALU_DEP_3) | instskip(NEXT) | instid1(VALU_DEP_3)
	v_mul_f32_e32 v38, v36, v34
	v_rcp_f32_e32 v39, v33
	s_delay_alu instid0(VALU_DEP_2) | instskip(SKIP_1) | instid1(VALU_DEP_3)
	v_div_fmas_f32 v22, v22, v27, v29
	v_mul_f32_e32 v27, v14, v14
	v_fma_f32 v35, -v30, v38, v36
	s_mov_b32 vcc_lo, s0
	s_delay_alu instid0(TRANS32_DEP_2) | instskip(NEXT) | instid1(VALU_DEP_3)
	v_fma_f32 v40, -v28, v37, 1.0
	v_dual_mul_f32 v26, v26, v14 :: v_dual_fmac_f32 v15, v11, v27
	v_div_scale_f32 v11, s1, v20, v25, v20
	s_delay_alu instid0(VALU_DEP_3) | instskip(SKIP_1) | instid1(VALU_DEP_4)
	v_fmac_f32_e32 v37, v40, v37
	v_fmac_f32_e32 v31, v14, v14
	v_dual_mul_f32 v14, v12, v14 :: v_dual_mul_f32 v15, v19, v15
	v_fma_f32 v27, -v33, v39, 1.0
	s_delay_alu instid0(VALU_DEP_2) | instskip(SKIP_1) | instid1(VALU_DEP_3)
	v_fma_f32 v7, v7, v6, -v14
	v_fmac_f32_e32 v38, v35, v34
	v_dual_fmac_f32 v39, v27, v39 :: v_dual_add_f32 v6, v12, v6
	v_div_scale_f32 v27, null, v25, v25, v15
	s_delay_alu instid0(VALU_DEP_4) | instskip(NEXT) | instid1(VALU_DEP_4)
	v_mul_f32_e32 v7, v16, v7
	v_fma_f32 v19, -v30, v38, v36
	v_mul_f32_e32 v30, v11, v37
	v_mul_f32_e32 v26, v31, v26
	v_div_scale_f32 v31, s2, v21, v3, v21
	v_rcp_f32_e32 v14, v27
	v_div_fmas_f32 v19, v19, v34, v38
	s_delay_alu instid0(VALU_DEP_3) | instskip(SKIP_3) | instid1(VALU_DEP_4)
	v_div_scale_f32 v24, null, v32, v32, v26
	v_fma_f32 v16, -v28, v30, v11
	v_mul_f32_e32 v34, v31, v39
	v_div_scale_f32 v36, s0, v26, v32, v26
	v_rcp_f32_e32 v29, v24
	s_delay_alu instid0(VALU_DEP_3) | instskip(NEXT) | instid1(VALU_DEP_3)
	v_fmac_f32_e32 v30, v16, v37
	v_fma_f32 v16, -v33, v34, v31
	s_delay_alu instid0(TRANS32_DEP_2) | instskip(SKIP_1) | instid1(VALU_DEP_3)
	v_fma_f32 v38, -v27, v14, 1.0
	s_mov_b32 vcc_lo, s1
	v_fma_f32 v11, -v28, v30, v11
	s_delay_alu instid0(VALU_DEP_3) | instskip(NEXT) | instid1(VALU_DEP_3)
	v_fmac_f32_e32 v34, v16, v39
	v_fmac_f32_e32 v14, v38, v14
	v_div_scale_f32 v38, s3, v15, v25, v15
	s_delay_alu instid0(TRANS32_DEP_1) | instskip(SKIP_3) | instid1(VALU_DEP_3)
	v_fma_f32 v35, -v24, v29, 1.0
	v_div_fmas_f32 v11, v11, v37, v30
	v_fma_f32 v30, -v33, v34, v31
	s_mov_b32 vcc_lo, s2
	v_fmac_f32_e32 v29, v35, v29
	v_div_scale_f32 v35, null, v3, v3, v7
	s_delay_alu instid0(VALU_DEP_3) | instskip(SKIP_1) | instid1(VALU_DEP_3)
	v_div_fmas_f32 v30, v30, v39, v34
	s_mov_b32 vcc_lo, s0
	v_mul_f32_e32 v41, v36, v29
	s_delay_alu instid0(VALU_DEP_3) | instskip(SKIP_1) | instid1(VALU_DEP_2)
	v_rcp_f32_e32 v40, v35
	v_div_fixup_f32 v11, v11, v25, v20
	v_fma_f32 v12, -v24, v41, v36
	v_mul_f32_e32 v16, v38, v14
	s_delay_alu instid0(VALU_DEP_2) | instskip(SKIP_4) | instid1(VALU_DEP_3)
	v_dual_add_f32 v6, v6, v11 :: v_dual_fmac_f32 v41, v12, v29
	s_waitcnt_depctr 0xfff
	v_fma_f32 v28, -v35, v40, 1.0
	v_fma_f32 v12, -v27, v16, v38
	v_fma_f32 v24, -v24, v41, v36
	v_fmac_f32_e32 v40, v28, v40
	v_div_scale_f32 v28, s1, v7, v3, v7
	s_delay_alu instid0(VALU_DEP_4) | instskip(NEXT) | instid1(VALU_DEP_4)
	v_fmac_f32_e32 v16, v12, v14
	v_div_fmas_f32 v12, v24, v29, v41
	s_mov_b32 vcc_lo, s3
	s_delay_alu instid0(VALU_DEP_3) | instskip(NEXT) | instid1(VALU_DEP_2)
	v_mul_f32_e32 v31, v28, v40
	v_div_fixup_f32 v12, v12, v32, v26
	s_delay_alu instid0(VALU_DEP_2) | instskip(NEXT) | instid1(VALU_DEP_2)
	v_fma_f32 v24, -v35, v31, v28
	v_add_f32_e32 v5, v5, v12
	v_fma_f32 v13, -v27, v16, v38
	s_delay_alu instid0(VALU_DEP_1) | instskip(SKIP_3) | instid1(VALU_DEP_3)
	v_div_fmas_f32 v13, v13, v14, v16
	v_div_fixup_f32 v14, v19, v3, v23
	v_fmac_f32_e32 v31, v24, v40
	s_mov_b32 vcc_lo, s1
	v_div_fixup_f32 v12, v13, v25, v15
	s_delay_alu instid0(VALU_DEP_3) | instskip(NEXT) | instid1(VALU_DEP_3)
	v_add_f32_e32 v16, v17, v14
	v_fma_f32 v11, -v35, v31, v28
	v_div_fixup_f32 v13, v30, v3, v21
	v_div_fixup_f32 v15, v22, v3, v18
	v_add_f32_e32 v5, v12, v5
	s_delay_alu instid0(VALU_DEP_4) | instskip(NEXT) | instid1(VALU_DEP_3)
	v_div_fmas_f32 v11, v11, v40, v31
	v_dual_add_f32 v17, v13, v6 :: v_dual_add_f32 v10, v10, v15
	v_cmp_lt_f32_e32 vcc_lo, v9, v4
	s_delay_alu instid0(VALU_DEP_3) | instskip(NEXT) | instid1(VALU_DEP_3)
	v_div_fixup_f32 v7, v11, v3, v7
	v_dual_mov_b32 v12, v17 :: v_dual_mov_b32 v11, v16
	v_cndmask_b32_e32 v9, v9, v4, vcc_lo
	s_delay_alu instid0(VALU_DEP_3)
	v_add_f32_e32 v13, v7, v5
	v_mov_b32_e32 v7, v3
.LBB25_28:
	s_or_b32 exec_lo, exec_lo, s19
	v_cmp_gt_u32_e32 vcc_lo, 6, v2
	v_add_nc_u32_e32 v20, 2, v2
	s_mov_b32 s19, exec_lo
	s_waitcnt lgkmcnt(4)
	v_cndmask_b32_e64 v4, 0, 1, vcc_lo
	s_delay_alu instid0(VALU_DEP_1) | instskip(SKIP_1) | instid1(VALU_DEP_1)
	v_lshlrev_b32_e32 v4, 1, v4
	s_waitcnt lgkmcnt(0)
	v_add_lshl_u32 v5, v4, v1, 2
	ds_bpermute_b32 v14, v5, v3
	ds_bpermute_b32 v18, v5, v8
	;; [unrolled: 1-line block ×7, first 2 shown]
	v_cmpx_gt_u32_e64 s4, v20
	s_cbranch_execz .LBB25_30
; %bb.29:
	s_waitcnt lgkmcnt(3)
	v_sub_f32_e32 v16, v19, v10
	v_cmp_gt_f32_e32 vcc_lo, v8, v18
	v_add_f32_e32 v3, v7, v14
	s_waitcnt lgkmcnt(2)
	v_add_f32_e32 v17, v11, v15
	s_waitcnt lgkmcnt(0)
	v_dual_sub_f32 v20, v7, v14 :: v_dual_add_f32 v5, v13, v5
	v_cndmask_b32_e32 v8, v8, v18, vcc_lo
	v_mul_f32_e32 v18, v16, v14
	s_delay_alu instid0(VALU_DEP_1) | instskip(NEXT) | instid1(VALU_DEP_1)
	v_div_scale_f32 v22, null, v3, v3, v18
	v_rcp_f32_e32 v27, v22
	s_waitcnt_depctr 0xfff
	v_fma_f32 v33, -v22, v27, 1.0
	s_delay_alu instid0(VALU_DEP_1) | instskip(SKIP_2) | instid1(VALU_DEP_2)
	v_fmac_f32_e32 v27, v33, v27
	v_mul_f32_e32 v19, v16, v16
	v_dual_mul_f32 v21, v11, v14 :: v_dual_mul_f32 v28, 0x40400000, v16
	v_mul_f32_e32 v23, v7, v19
	v_mul_f32_e32 v26, v16, v19
	v_div_scale_f32 v35, vcc_lo, v18, v3, v18
	s_delay_alu instid0(VALU_DEP_4) | instskip(NEXT) | instid1(VALU_DEP_4)
	v_fma_f32 v21, v7, v15, -v21
	v_mul_f32_e32 v23, v23, v14
	s_delay_alu instid0(VALU_DEP_4)
	v_mul_f32_e32 v29, v7, v26
	v_mul_f32_e32 v26, v16, v26
	v_mul_f32_e32 v16, 4.0, v16
	v_mul_f32_e32 v24, v7, v7
	v_div_scale_f32 v30, null, v3, v3, v23
	v_mul_f32_e32 v29, v29, v14
	v_mul_f32_e32 v25, v3, v3
	v_div_scale_f32 v36, s0, v23, v3, v23
	s_delay_alu instid0(VALU_DEP_4) | instskip(NEXT) | instid1(VALU_DEP_3)
	v_rcp_f32_e32 v34, v30
	v_dual_mul_f32 v20, v20, v29 :: v_dual_mul_f32 v29, v35, v27
	v_fma_f32 v31, -v7, v14, v24
	v_dual_mul_f32 v26, v7, v26 :: v_dual_mul_f32 v15, v24, v15
	v_mul_f32_e32 v19, 0x40c00000, v19
	s_delay_alu instid0(VALU_DEP_4) | instskip(SKIP_1) | instid1(TRANS32_DEP_1)
	v_fma_f32 v38, -v22, v29, v35
	v_mul_f32_e32 v32, v3, v25
	v_fma_f32 v33, -v30, v34, 1.0
	v_mul_f32_e32 v21, v28, v21
	v_div_scale_f32 v28, null, v25, v25, v20
	s_delay_alu instid0(VALU_DEP_3) | instskip(NEXT) | instid1(VALU_DEP_3)
	v_dual_fmac_f32 v29, v38, v27 :: v_dual_fmac_f32 v34, v33, v34
	v_div_scale_f32 v33, null, v3, v3, v21
	s_delay_alu instid0(VALU_DEP_3) | instskip(NEXT) | instid1(VALU_DEP_2)
	v_rcp_f32_e32 v37, v28
	v_fma_f32 v22, -v22, v29, v35
	s_delay_alu instid0(VALU_DEP_3) | instskip(NEXT) | instid1(VALU_DEP_3)
	v_mul_f32_e32 v38, v36, v34
	v_rcp_f32_e32 v39, v33
	s_delay_alu instid0(VALU_DEP_2) | instskip(SKIP_1) | instid1(VALU_DEP_3)
	v_div_fmas_f32 v22, v22, v27, v29
	v_mul_f32_e32 v27, v14, v14
	v_fma_f32 v35, -v30, v38, v36
	s_mov_b32 vcc_lo, s0
	s_delay_alu instid0(TRANS32_DEP_2) | instskip(NEXT) | instid1(VALU_DEP_3)
	v_fma_f32 v40, -v28, v37, 1.0
	v_dual_mul_f32 v26, v26, v14 :: v_dual_fmac_f32 v15, v11, v27
	v_div_scale_f32 v11, s1, v20, v25, v20
	s_delay_alu instid0(VALU_DEP_3) | instskip(SKIP_1) | instid1(VALU_DEP_4)
	v_fmac_f32_e32 v37, v40, v37
	v_fmac_f32_e32 v31, v14, v14
	v_dual_mul_f32 v14, v12, v14 :: v_dual_mul_f32 v15, v19, v15
	v_fma_f32 v27, -v33, v39, 1.0
	s_delay_alu instid0(VALU_DEP_2) | instskip(SKIP_1) | instid1(VALU_DEP_3)
	v_fma_f32 v7, v7, v6, -v14
	v_fmac_f32_e32 v38, v35, v34
	v_dual_fmac_f32 v39, v27, v39 :: v_dual_add_f32 v6, v12, v6
	v_div_scale_f32 v27, null, v25, v25, v15
	s_delay_alu instid0(VALU_DEP_4) | instskip(NEXT) | instid1(VALU_DEP_4)
	v_mul_f32_e32 v7, v16, v7
	v_fma_f32 v19, -v30, v38, v36
	v_mul_f32_e32 v30, v11, v37
	v_mul_f32_e32 v26, v31, v26
	v_div_scale_f32 v31, s2, v21, v3, v21
	v_rcp_f32_e32 v14, v27
	v_div_fmas_f32 v19, v19, v34, v38
	s_delay_alu instid0(VALU_DEP_3) | instskip(SKIP_3) | instid1(VALU_DEP_4)
	v_div_scale_f32 v24, null, v32, v32, v26
	v_fma_f32 v16, -v28, v30, v11
	v_mul_f32_e32 v34, v31, v39
	v_div_scale_f32 v36, s0, v26, v32, v26
	v_rcp_f32_e32 v29, v24
	s_delay_alu instid0(VALU_DEP_3) | instskip(NEXT) | instid1(VALU_DEP_3)
	v_fmac_f32_e32 v30, v16, v37
	v_fma_f32 v16, -v33, v34, v31
	s_delay_alu instid0(TRANS32_DEP_2) | instskip(SKIP_1) | instid1(VALU_DEP_3)
	v_fma_f32 v38, -v27, v14, 1.0
	s_mov_b32 vcc_lo, s1
	v_fma_f32 v11, -v28, v30, v11
	s_delay_alu instid0(VALU_DEP_3) | instskip(NEXT) | instid1(VALU_DEP_3)
	v_fmac_f32_e32 v34, v16, v39
	v_fmac_f32_e32 v14, v38, v14
	v_div_scale_f32 v38, s3, v15, v25, v15
	s_delay_alu instid0(TRANS32_DEP_1) | instskip(SKIP_3) | instid1(VALU_DEP_3)
	v_fma_f32 v35, -v24, v29, 1.0
	v_div_fmas_f32 v11, v11, v37, v30
	v_fma_f32 v30, -v33, v34, v31
	s_mov_b32 vcc_lo, s2
	v_fmac_f32_e32 v29, v35, v29
	v_div_scale_f32 v35, null, v3, v3, v7
	s_delay_alu instid0(VALU_DEP_3) | instskip(SKIP_1) | instid1(VALU_DEP_3)
	v_div_fmas_f32 v30, v30, v39, v34
	s_mov_b32 vcc_lo, s0
	v_mul_f32_e32 v41, v36, v29
	s_delay_alu instid0(VALU_DEP_3) | instskip(SKIP_1) | instid1(VALU_DEP_2)
	v_rcp_f32_e32 v40, v35
	v_div_fixup_f32 v11, v11, v25, v20
	v_fma_f32 v12, -v24, v41, v36
	v_mul_f32_e32 v16, v38, v14
	s_delay_alu instid0(VALU_DEP_2) | instskip(SKIP_4) | instid1(VALU_DEP_3)
	v_dual_add_f32 v6, v6, v11 :: v_dual_fmac_f32 v41, v12, v29
	s_waitcnt_depctr 0xfff
	v_fma_f32 v28, -v35, v40, 1.0
	v_fma_f32 v12, -v27, v16, v38
	v_fma_f32 v24, -v24, v41, v36
	v_fmac_f32_e32 v40, v28, v40
	v_div_scale_f32 v28, s1, v7, v3, v7
	s_delay_alu instid0(VALU_DEP_4) | instskip(NEXT) | instid1(VALU_DEP_4)
	v_fmac_f32_e32 v16, v12, v14
	v_div_fmas_f32 v12, v24, v29, v41
	s_mov_b32 vcc_lo, s3
	s_delay_alu instid0(VALU_DEP_3) | instskip(NEXT) | instid1(VALU_DEP_2)
	v_mul_f32_e32 v31, v28, v40
	v_div_fixup_f32 v12, v12, v32, v26
	s_delay_alu instid0(VALU_DEP_2) | instskip(NEXT) | instid1(VALU_DEP_2)
	v_fma_f32 v24, -v35, v31, v28
	v_add_f32_e32 v5, v5, v12
	v_fma_f32 v13, -v27, v16, v38
	s_delay_alu instid0(VALU_DEP_1) | instskip(SKIP_3) | instid1(VALU_DEP_3)
	v_div_fmas_f32 v13, v13, v14, v16
	v_div_fixup_f32 v14, v19, v3, v23
	v_fmac_f32_e32 v31, v24, v40
	s_mov_b32 vcc_lo, s1
	v_div_fixup_f32 v12, v13, v25, v15
	s_delay_alu instid0(VALU_DEP_3) | instskip(NEXT) | instid1(VALU_DEP_3)
	v_add_f32_e32 v16, v17, v14
	v_fma_f32 v11, -v35, v31, v28
	v_div_fixup_f32 v13, v30, v3, v21
	v_div_fixup_f32 v15, v22, v3, v18
	v_add_f32_e32 v5, v12, v5
	s_delay_alu instid0(VALU_DEP_4) | instskip(NEXT) | instid1(VALU_DEP_3)
	v_div_fmas_f32 v11, v11, v40, v31
	v_dual_add_f32 v17, v13, v6 :: v_dual_add_f32 v10, v10, v15
	v_cmp_lt_f32_e32 vcc_lo, v9, v4
	s_delay_alu instid0(VALU_DEP_3) | instskip(NEXT) | instid1(VALU_DEP_3)
	v_div_fixup_f32 v7, v11, v3, v7
	v_dual_mov_b32 v12, v17 :: v_dual_mov_b32 v11, v16
	v_cndmask_b32_e32 v9, v9, v4, vcc_lo
	s_delay_alu instid0(VALU_DEP_3)
	v_add_f32_e32 v13, v7, v5
	v_mov_b32_e32 v7, v3
.LBB25_30:
	s_or_b32 exec_lo, exec_lo, s19
	v_cmp_gt_u32_e32 vcc_lo, 4, v2
	v_add_nc_u32_e32 v2, 4, v2
	s_mov_b32 s19, exec_lo
	s_waitcnt lgkmcnt(4)
	v_cndmask_b32_e64 v4, 0, 1, vcc_lo
	s_delay_alu instid0(VALU_DEP_1) | instskip(SKIP_1) | instid1(VALU_DEP_1)
	v_lshlrev_b32_e32 v4, 2, v4
	s_waitcnt lgkmcnt(0)
	v_add_lshl_u32 v5, v4, v1, 2
	ds_bpermute_b32 v6, v5, v3
	ds_bpermute_b32 v14, v5, v8
	;; [unrolled: 1-line block ×7, first 2 shown]
	v_cmpx_gt_u32_e64 s4, v2
	s_cbranch_execz .LBB25_32
; %bb.31:
	s_waitcnt lgkmcnt(6)
	v_mul_f32_e32 v17, v11, v6
	s_waitcnt lgkmcnt(5)
	v_cmp_gt_f32_e32 vcc_lo, v8, v14
	s_waitcnt lgkmcnt(0)
	v_add_f32_e32 v5, v13, v5
	v_fma_f32 v17, v7, v4, -v17
	v_sub_f32_e32 v2, v15, v10
	v_add_f32_e32 v15, v7, v6
	v_cndmask_b32_e32 v8, v8, v14, vcc_lo
	s_delay_alu instid0(VALU_DEP_3) | instskip(NEXT) | instid1(VALU_DEP_1)
	v_mul_f32_e32 v25, 0x40400000, v2
	v_dual_mul_f32 v17, v25, v17 :: v_dual_mul_f32 v18, v2, v2
	s_delay_alu instid0(VALU_DEP_1) | instskip(SKIP_2) | instid1(VALU_DEP_3)
	v_dual_mul_f32 v20, v7, v7 :: v_dual_mul_f32 v23, v2, v18
	v_sub_f32_e32 v16, v7, v6
	v_mul_f32_e32 v22, v7, v18
	v_fma_f32 v27, -v7, v6, v20
	v_mul_f32_e32 v20, v20, v4
	v_mul_f32_e32 v26, v7, v23
	;; [unrolled: 1-line block ×4, first 2 shown]
	v_fmac_f32_e32 v27, v6, v6
	v_mul_f32_e32 v2, 4.0, v2
	v_add_f32_e32 v4, v11, v4
	v_mul_f32_e32 v23, v7, v23
	v_div_scale_f32 v19, null, v15, v15, v14
	s_delay_alu instid0(VALU_DEP_2) | instskip(NEXT) | instid1(VALU_DEP_2)
	v_mul_f32_e32 v23, v23, v6
	v_rcp_f32_e32 v24, v19
	s_delay_alu instid0(VALU_DEP_1) | instskip(SKIP_2) | instid1(VALU_DEP_1)
	v_dual_mul_f32 v22, v22, v6 :: v_dual_mul_f32 v23, v27, v23
	s_waitcnt_depctr 0xfff
	v_fma_f32 v30, -v19, v24, 1.0
	v_dual_fmac_f32 v24, v30, v24 :: v_dual_mul_f32 v21, v15, v15
	v_div_scale_f32 v29, null, v15, v15, v22
	v_div_scale_f32 v30, null, v15, v15, v17
	s_delay_alu instid0(VALU_DEP_3) | instskip(NEXT) | instid1(VALU_DEP_3)
	v_mul_f32_e32 v28, v15, v21
	v_rcp_f32_e32 v32, v29
	v_div_scale_f32 v31, vcc_lo, v14, v15, v14
	v_div_scale_f32 v36, s0, v22, v15, v22
	s_waitcnt_depctr 0xfff
	v_fma_f32 v33, -v29, v32, 1.0
	s_delay_alu instid0(VALU_DEP_1) | instskip(SKIP_3) | instid1(VALU_DEP_1)
	v_fmac_f32_e32 v32, v33, v32
	v_rcp_f32_e32 v33, v30
	s_waitcnt_depctr 0xfff
	v_fma_f32 v27, -v30, v33, 1.0
	v_dual_mul_f32 v26, v26, v6 :: v_dual_fmac_f32 v33, v27, v33
	s_delay_alu instid0(VALU_DEP_1) | instskip(SKIP_2) | instid1(VALU_DEP_3)
	v_mul_f32_e32 v16, v16, v26
	v_mul_f32_e32 v26, v31, v24
	v_div_scale_f32 v27, s2, v17, v15, v17
	v_div_scale_f32 v25, null, v21, v21, v16
	s_delay_alu instid0(VALU_DEP_3) | instskip(NEXT) | instid1(VALU_DEP_2)
	v_fma_f32 v35, -v19, v26, v31
	v_rcp_f32_e32 v34, v25
	s_delay_alu instid0(VALU_DEP_1) | instskip(SKIP_1) | instid1(VALU_DEP_2)
	v_fmac_f32_e32 v26, v35, v24
	v_dual_mul_f32 v35, v36, v32 :: v_dual_mul_f32 v18, 0x40c00000, v18
	v_fma_f32 v19, -v19, v26, v31
	v_mul_f32_e32 v31, v6, v6
	v_mul_f32_e32 v6, v12, v6
	s_waitcnt_depctr 0xfff
	v_fma_f32 v37, -v25, v34, 1.0
	v_div_fmas_f32 v19, v19, v24, v26
	v_fma_f32 v26, -v29, v35, v36
	v_fmac_f32_e32 v20, v11, v31
	v_div_scale_f32 v24, null, v28, v28, v23
	v_fma_f32 v6, v7, v3, -v6
	s_delay_alu instid0(VALU_DEP_4) | instskip(NEXT) | instid1(VALU_DEP_4)
	v_fmac_f32_e32 v35, v26, v32
	v_dual_mul_f32 v18, v18, v20 :: v_dual_add_f32 v3, v12, v3
	s_delay_alu instid0(VALU_DEP_4) | instskip(SKIP_1) | instid1(VALU_DEP_2)
	v_rcp_f32_e32 v31, v24
	s_mov_b32 vcc_lo, s0
	v_fma_f32 v7, -v29, v35, v36
	s_delay_alu instid0(VALU_DEP_2) | instskip(SKIP_2) | instid1(VALU_DEP_4)
	v_div_scale_f32 v26, null, v21, v21, v18
	v_fmac_f32_e32 v34, v37, v34
	v_div_fixup_f32 v14, v19, v15, v14
	v_div_fmas_f32 v7, v7, v32, v35
	s_delay_alu instid0(VALU_DEP_4) | instskip(SKIP_1) | instid1(TRANS32_DEP_2)
	v_rcp_f32_e32 v38, v26
	v_mul_f32_e32 v36, v27, v33
	v_fma_f32 v37, -v24, v31, 1.0
	v_div_scale_f32 v41, s4, v18, v21, v18
	v_div_fixup_f32 v7, v7, v15, v22
	s_delay_alu instid0(VALU_DEP_3) | instskip(SKIP_1) | instid1(TRANS32_DEP_1)
	v_dual_mul_f32 v2, v2, v6 :: v_dual_fmac_f32 v31, v37, v31
	v_div_scale_f32 v19, s1, v16, v21, v16
	v_fma_f32 v37, -v26, v38, 1.0
	s_delay_alu instid0(VALU_DEP_3) | instskip(SKIP_1) | instid1(VALU_DEP_3)
	v_div_scale_f32 v39, null, v15, v15, v2
	v_div_scale_f32 v6, s3, v23, v28, v23
	v_fmac_f32_e32 v38, v37, v38
	s_delay_alu instid0(VALU_DEP_3) | instskip(SKIP_1) | instid1(VALU_DEP_2)
	v_rcp_f32_e32 v37, v39
	s_mov_b32 vcc_lo, s1
	v_mul_f32_e32 v40, v6, v31
	v_add_f32_e32 v10, v10, v14
	s_waitcnt_depctr 0xfff
	v_fma_f32 v32, -v39, v37, 1.0
	s_delay_alu instid0(VALU_DEP_1) | instskip(NEXT) | instid1(VALU_DEP_1)
	v_dual_fmac_f32 v37, v32, v37 :: v_dual_mul_f32 v20, v19, v34
	v_fma_f32 v29, -v25, v20, v19
	s_delay_alu instid0(VALU_DEP_1) | instskip(SKIP_1) | instid1(VALU_DEP_2)
	v_fmac_f32_e32 v20, v29, v34
	v_fma_f32 v29, -v30, v36, v27
	v_fma_f32 v19, -v25, v20, v19
	s_delay_alu instid0(VALU_DEP_2) | instskip(SKIP_2) | instid1(VALU_DEP_4)
	v_fmac_f32_e32 v36, v29, v33
	v_fma_f32 v25, -v24, v40, v6
	v_mul_f32_e32 v29, v41, v38
	v_div_fmas_f32 v19, v19, v34, v20
	s_delay_alu instid0(VALU_DEP_4) | instskip(NEXT) | instid1(VALU_DEP_4)
	v_fma_f32 v20, -v30, v36, v27
	v_fmac_f32_e32 v40, v25, v31
	v_div_scale_f32 v27, s0, v2, v15, v2
	v_fma_f32 v25, -v26, v29, v41
	s_mov_b32 vcc_lo, s2
	s_delay_alu instid0(VALU_DEP_3) | instskip(NEXT) | instid1(VALU_DEP_3)
	v_fma_f32 v6, -v24, v40, v6
	v_mul_f32_e32 v24, v27, v37
	v_div_fmas_f32 v20, v20, v33, v36
	v_fmac_f32_e32 v29, v25, v38
	s_mov_b32 vcc_lo, s3
	v_div_fixup_f32 v12, v19, v21, v16
	v_fma_f32 v25, -v39, v24, v27
	v_div_fmas_f32 v6, v6, v31, v40
	v_fma_f32 v11, -v26, v29, v41
	s_mov_b32 vcc_lo, s4
	s_delay_alu instid0(VALU_DEP_3) | instskip(NEXT) | instid1(VALU_DEP_3)
	v_dual_add_f32 v3, v3, v12 :: v_dual_fmac_f32 v24, v25, v37
	v_div_fixup_f32 v6, v6, v28, v23
	s_delay_alu instid0(VALU_DEP_3)
	v_div_fmas_f32 v11, v11, v38, v29
	s_mov_b32 vcc_lo, s0
	v_div_fixup_f32 v12, v20, v15, v17
	v_fma_f32 v13, -v39, v24, v27
	v_add_f32_e32 v5, v5, v6
	v_div_fixup_f32 v6, v11, v21, v18
	s_delay_alu instid0(VALU_DEP_4) | instskip(NEXT) | instid1(VALU_DEP_4)
	v_add_f32_e32 v12, v12, v3
	v_div_fmas_f32 v11, v13, v37, v24
	v_cmp_lt_f32_e32 vcc_lo, v9, v1
	s_delay_alu instid0(VALU_DEP_4) | instskip(NEXT) | instid1(VALU_DEP_3)
	v_add_f32_e32 v5, v6, v5
	v_div_fixup_f32 v2, v11, v15, v2
	v_cndmask_b32_e32 v9, v9, v1, vcc_lo
	v_add_f32_e32 v11, v4, v7
	v_mov_b32_e32 v7, v15
	s_delay_alu instid0(VALU_DEP_4)
	v_add_f32_e32 v13, v2, v5
.LBB25_32:
	s_or_b32 exec_lo, exec_lo, s19
.LBB25_33:
	s_delay_alu instid0(SALU_CYCLE_1)
	s_or_b32 exec_lo, exec_lo, s5
.LBB25_34:
	s_delay_alu instid0(SALU_CYCLE_1)
	s_mov_b32 s0, exec_lo
	v_cmpx_eq_u32_e32 0, v0
	s_cbranch_execz .LBB25_38
; %bb.35:
	s_waitcnt lgkmcnt(4)
	v_dual_mov_b32 v0, s12 :: v_dual_mov_b32 v1, s13
	s_waitcnt lgkmcnt(1)
	v_dual_mov_b32 v2, s14 :: v_dual_mov_b32 v3, s15
	;; [unrolled: 2-line block ×3, first 2 shown]
	v_mov_b32_e32 v6, s18
	s_cmp_eq_u64 s[6:7], 0
	s_cbranch_scc1 .LBB25_37
; %bb.36:
	v_dual_mov_b32 v0, v7 :: v_dual_mov_b32 v1, v8
	v_dual_mov_b32 v2, v9 :: v_dual_mov_b32 v3, v10
	;; [unrolled: 1-line block ×3, first 2 shown]
	v_mov_b32_e32 v6, v13
.LBB25_37:
	s_mul_i32 s0, s22, s11
	s_mul_hi_u32 s1, s22, s10
	s_mul_i32 s2, s23, s10
	s_add_i32 s0, s1, s0
	s_mul_i32 s1, s22, s10
	s_add_i32 s0, s0, s2
	s_mul_hi_u32 s2, s1, 28
	s_mul_i32 s0, s0, 28
	s_mul_i32 s1, s1, 28
	s_add_i32 s2, s2, s0
	s_add_u32 s0, s8, s1
	s_addc_u32 s1, s9, s2
	s_mul_i32 s2, s20, 28
	v_mov_b32_e32 v7, 0
	s_mul_hi_u32 s3, s20, 28
	s_add_u32 s0, s0, s2
	s_addc_u32 s1, s1, s3
	s_clause 0x1
	global_store_b128 v7, v[0:3], s[0:1]
	global_store_b96 v7, v[4:6], s[0:1] offset:16
.LBB25_38:
	s_nop 0
	s_sendmsg sendmsg(MSG_DEALLOC_VGPRS)
	s_endpgm
	.section	.rodata,"a",@progbits
	.p2align	6, 0x0
	.amdhsa_kernel _ZN7rocprim17ROCPRIM_400000_NS6detail17trampoline_kernelINS0_14default_configENS1_22reduce_config_selectorI18summary_stats_dataIfEEEZNS1_11reduce_implILb1ES3_N6thrust23THRUST_200600_302600_NS11hip_rocprim26transform_input_iterator_tIS6_NSA_6detail15normal_iteratorINSA_10device_ptrIfEEEE22summary_stats_unary_opIfEEEPS6_S6_23summary_stats_binary_opIfEEE10hipError_tPvRmT1_T2_T3_mT4_P12ihipStream_tbEUlT_E0_NS1_11comp_targetILNS1_3genE9ELNS1_11target_archE1100ELNS1_3gpuE3ELNS1_3repE0EEENS1_30default_config_static_selectorELNS0_4arch9wavefront6targetE0EEEvSR_
		.amdhsa_group_segment_fixed_size 448
		.amdhsa_private_segment_fixed_size 0
		.amdhsa_kernarg_size 88
		.amdhsa_user_sgpr_count 15
		.amdhsa_user_sgpr_dispatch_ptr 0
		.amdhsa_user_sgpr_queue_ptr 0
		.amdhsa_user_sgpr_kernarg_segment_ptr 1
		.amdhsa_user_sgpr_dispatch_id 0
		.amdhsa_user_sgpr_private_segment_size 0
		.amdhsa_wavefront_size32 1
		.amdhsa_uses_dynamic_stack 0
		.amdhsa_enable_private_segment 0
		.amdhsa_system_sgpr_workgroup_id_x 1
		.amdhsa_system_sgpr_workgroup_id_y 0
		.amdhsa_system_sgpr_workgroup_id_z 0
		.amdhsa_system_sgpr_workgroup_info 0
		.amdhsa_system_vgpr_workitem_id 0
		.amdhsa_next_free_vgpr 79
		.amdhsa_next_free_sgpr 26
		.amdhsa_reserve_vcc 1
		.amdhsa_float_round_mode_32 0
		.amdhsa_float_round_mode_16_64 0
		.amdhsa_float_denorm_mode_32 3
		.amdhsa_float_denorm_mode_16_64 3
		.amdhsa_dx10_clamp 1
		.amdhsa_ieee_mode 1
		.amdhsa_fp16_overflow 0
		.amdhsa_workgroup_processor_mode 1
		.amdhsa_memory_ordered 1
		.amdhsa_forward_progress 0
		.amdhsa_shared_vgpr_count 0
		.amdhsa_exception_fp_ieee_invalid_op 0
		.amdhsa_exception_fp_denorm_src 0
		.amdhsa_exception_fp_ieee_div_zero 0
		.amdhsa_exception_fp_ieee_overflow 0
		.amdhsa_exception_fp_ieee_underflow 0
		.amdhsa_exception_fp_ieee_inexact 0
		.amdhsa_exception_int_div_zero 0
	.end_amdhsa_kernel
	.section	.text._ZN7rocprim17ROCPRIM_400000_NS6detail17trampoline_kernelINS0_14default_configENS1_22reduce_config_selectorI18summary_stats_dataIfEEEZNS1_11reduce_implILb1ES3_N6thrust23THRUST_200600_302600_NS11hip_rocprim26transform_input_iterator_tIS6_NSA_6detail15normal_iteratorINSA_10device_ptrIfEEEE22summary_stats_unary_opIfEEEPS6_S6_23summary_stats_binary_opIfEEE10hipError_tPvRmT1_T2_T3_mT4_P12ihipStream_tbEUlT_E0_NS1_11comp_targetILNS1_3genE9ELNS1_11target_archE1100ELNS1_3gpuE3ELNS1_3repE0EEENS1_30default_config_static_selectorELNS0_4arch9wavefront6targetE0EEEvSR_,"axG",@progbits,_ZN7rocprim17ROCPRIM_400000_NS6detail17trampoline_kernelINS0_14default_configENS1_22reduce_config_selectorI18summary_stats_dataIfEEEZNS1_11reduce_implILb1ES3_N6thrust23THRUST_200600_302600_NS11hip_rocprim26transform_input_iterator_tIS6_NSA_6detail15normal_iteratorINSA_10device_ptrIfEEEE22summary_stats_unary_opIfEEEPS6_S6_23summary_stats_binary_opIfEEE10hipError_tPvRmT1_T2_T3_mT4_P12ihipStream_tbEUlT_E0_NS1_11comp_targetILNS1_3genE9ELNS1_11target_archE1100ELNS1_3gpuE3ELNS1_3repE0EEENS1_30default_config_static_selectorELNS0_4arch9wavefront6targetE0EEEvSR_,comdat
.Lfunc_end25:
	.size	_ZN7rocprim17ROCPRIM_400000_NS6detail17trampoline_kernelINS0_14default_configENS1_22reduce_config_selectorI18summary_stats_dataIfEEEZNS1_11reduce_implILb1ES3_N6thrust23THRUST_200600_302600_NS11hip_rocprim26transform_input_iterator_tIS6_NSA_6detail15normal_iteratorINSA_10device_ptrIfEEEE22summary_stats_unary_opIfEEEPS6_S6_23summary_stats_binary_opIfEEE10hipError_tPvRmT1_T2_T3_mT4_P12ihipStream_tbEUlT_E0_NS1_11comp_targetILNS1_3genE9ELNS1_11target_archE1100ELNS1_3gpuE3ELNS1_3repE0EEENS1_30default_config_static_selectorELNS0_4arch9wavefront6targetE0EEEvSR_, .Lfunc_end25-_ZN7rocprim17ROCPRIM_400000_NS6detail17trampoline_kernelINS0_14default_configENS1_22reduce_config_selectorI18summary_stats_dataIfEEEZNS1_11reduce_implILb1ES3_N6thrust23THRUST_200600_302600_NS11hip_rocprim26transform_input_iterator_tIS6_NSA_6detail15normal_iteratorINSA_10device_ptrIfEEEE22summary_stats_unary_opIfEEEPS6_S6_23summary_stats_binary_opIfEEE10hipError_tPvRmT1_T2_T3_mT4_P12ihipStream_tbEUlT_E0_NS1_11comp_targetILNS1_3genE9ELNS1_11target_archE1100ELNS1_3gpuE3ELNS1_3repE0EEENS1_30default_config_static_selectorELNS0_4arch9wavefront6targetE0EEEvSR_
                                        ; -- End function
	.section	.AMDGPU.csdata,"",@progbits
; Kernel info:
; codeLenInByte = 16324
; NumSgprs: 28
; NumVgprs: 79
; ScratchSize: 0
; MemoryBound: 0
; FloatMode: 240
; IeeeMode: 1
; LDSByteSize: 448 bytes/workgroup (compile time only)
; SGPRBlocks: 3
; VGPRBlocks: 9
; NumSGPRsForWavesPerEU: 28
; NumVGPRsForWavesPerEU: 79
; Occupancy: 16
; WaveLimiterHint : 1
; COMPUTE_PGM_RSRC2:SCRATCH_EN: 0
; COMPUTE_PGM_RSRC2:USER_SGPR: 15
; COMPUTE_PGM_RSRC2:TRAP_HANDLER: 0
; COMPUTE_PGM_RSRC2:TGID_X_EN: 1
; COMPUTE_PGM_RSRC2:TGID_Y_EN: 0
; COMPUTE_PGM_RSRC2:TGID_Z_EN: 0
; COMPUTE_PGM_RSRC2:TIDIG_COMP_CNT: 0
	.section	.text._ZN7rocprim17ROCPRIM_400000_NS6detail17trampoline_kernelINS0_14default_configENS1_22reduce_config_selectorI18summary_stats_dataIfEEEZNS1_11reduce_implILb1ES3_N6thrust23THRUST_200600_302600_NS11hip_rocprim26transform_input_iterator_tIS6_NSA_6detail15normal_iteratorINSA_10device_ptrIfEEEE22summary_stats_unary_opIfEEEPS6_S6_23summary_stats_binary_opIfEEE10hipError_tPvRmT1_T2_T3_mT4_P12ihipStream_tbEUlT_E0_NS1_11comp_targetILNS1_3genE8ELNS1_11target_archE1030ELNS1_3gpuE2ELNS1_3repE0EEENS1_30default_config_static_selectorELNS0_4arch9wavefront6targetE0EEEvSR_,"axG",@progbits,_ZN7rocprim17ROCPRIM_400000_NS6detail17trampoline_kernelINS0_14default_configENS1_22reduce_config_selectorI18summary_stats_dataIfEEEZNS1_11reduce_implILb1ES3_N6thrust23THRUST_200600_302600_NS11hip_rocprim26transform_input_iterator_tIS6_NSA_6detail15normal_iteratorINSA_10device_ptrIfEEEE22summary_stats_unary_opIfEEEPS6_S6_23summary_stats_binary_opIfEEE10hipError_tPvRmT1_T2_T3_mT4_P12ihipStream_tbEUlT_E0_NS1_11comp_targetILNS1_3genE8ELNS1_11target_archE1030ELNS1_3gpuE2ELNS1_3repE0EEENS1_30default_config_static_selectorELNS0_4arch9wavefront6targetE0EEEvSR_,comdat
	.protected	_ZN7rocprim17ROCPRIM_400000_NS6detail17trampoline_kernelINS0_14default_configENS1_22reduce_config_selectorI18summary_stats_dataIfEEEZNS1_11reduce_implILb1ES3_N6thrust23THRUST_200600_302600_NS11hip_rocprim26transform_input_iterator_tIS6_NSA_6detail15normal_iteratorINSA_10device_ptrIfEEEE22summary_stats_unary_opIfEEEPS6_S6_23summary_stats_binary_opIfEEE10hipError_tPvRmT1_T2_T3_mT4_P12ihipStream_tbEUlT_E0_NS1_11comp_targetILNS1_3genE8ELNS1_11target_archE1030ELNS1_3gpuE2ELNS1_3repE0EEENS1_30default_config_static_selectorELNS0_4arch9wavefront6targetE0EEEvSR_ ; -- Begin function _ZN7rocprim17ROCPRIM_400000_NS6detail17trampoline_kernelINS0_14default_configENS1_22reduce_config_selectorI18summary_stats_dataIfEEEZNS1_11reduce_implILb1ES3_N6thrust23THRUST_200600_302600_NS11hip_rocprim26transform_input_iterator_tIS6_NSA_6detail15normal_iteratorINSA_10device_ptrIfEEEE22summary_stats_unary_opIfEEEPS6_S6_23summary_stats_binary_opIfEEE10hipError_tPvRmT1_T2_T3_mT4_P12ihipStream_tbEUlT_E0_NS1_11comp_targetILNS1_3genE8ELNS1_11target_archE1030ELNS1_3gpuE2ELNS1_3repE0EEENS1_30default_config_static_selectorELNS0_4arch9wavefront6targetE0EEEvSR_
	.globl	_ZN7rocprim17ROCPRIM_400000_NS6detail17trampoline_kernelINS0_14default_configENS1_22reduce_config_selectorI18summary_stats_dataIfEEEZNS1_11reduce_implILb1ES3_N6thrust23THRUST_200600_302600_NS11hip_rocprim26transform_input_iterator_tIS6_NSA_6detail15normal_iteratorINSA_10device_ptrIfEEEE22summary_stats_unary_opIfEEEPS6_S6_23summary_stats_binary_opIfEEE10hipError_tPvRmT1_T2_T3_mT4_P12ihipStream_tbEUlT_E0_NS1_11comp_targetILNS1_3genE8ELNS1_11target_archE1030ELNS1_3gpuE2ELNS1_3repE0EEENS1_30default_config_static_selectorELNS0_4arch9wavefront6targetE0EEEvSR_
	.p2align	8
	.type	_ZN7rocprim17ROCPRIM_400000_NS6detail17trampoline_kernelINS0_14default_configENS1_22reduce_config_selectorI18summary_stats_dataIfEEEZNS1_11reduce_implILb1ES3_N6thrust23THRUST_200600_302600_NS11hip_rocprim26transform_input_iterator_tIS6_NSA_6detail15normal_iteratorINSA_10device_ptrIfEEEE22summary_stats_unary_opIfEEEPS6_S6_23summary_stats_binary_opIfEEE10hipError_tPvRmT1_T2_T3_mT4_P12ihipStream_tbEUlT_E0_NS1_11comp_targetILNS1_3genE8ELNS1_11target_archE1030ELNS1_3gpuE2ELNS1_3repE0EEENS1_30default_config_static_selectorELNS0_4arch9wavefront6targetE0EEEvSR_,@function
_ZN7rocprim17ROCPRIM_400000_NS6detail17trampoline_kernelINS0_14default_configENS1_22reduce_config_selectorI18summary_stats_dataIfEEEZNS1_11reduce_implILb1ES3_N6thrust23THRUST_200600_302600_NS11hip_rocprim26transform_input_iterator_tIS6_NSA_6detail15normal_iteratorINSA_10device_ptrIfEEEE22summary_stats_unary_opIfEEEPS6_S6_23summary_stats_binary_opIfEEE10hipError_tPvRmT1_T2_T3_mT4_P12ihipStream_tbEUlT_E0_NS1_11comp_targetILNS1_3genE8ELNS1_11target_archE1030ELNS1_3gpuE2ELNS1_3repE0EEENS1_30default_config_static_selectorELNS0_4arch9wavefront6targetE0EEEvSR_: ; @_ZN7rocprim17ROCPRIM_400000_NS6detail17trampoline_kernelINS0_14default_configENS1_22reduce_config_selectorI18summary_stats_dataIfEEEZNS1_11reduce_implILb1ES3_N6thrust23THRUST_200600_302600_NS11hip_rocprim26transform_input_iterator_tIS6_NSA_6detail15normal_iteratorINSA_10device_ptrIfEEEE22summary_stats_unary_opIfEEEPS6_S6_23summary_stats_binary_opIfEEE10hipError_tPvRmT1_T2_T3_mT4_P12ihipStream_tbEUlT_E0_NS1_11comp_targetILNS1_3genE8ELNS1_11target_archE1030ELNS1_3gpuE2ELNS1_3repE0EEENS1_30default_config_static_selectorELNS0_4arch9wavefront6targetE0EEEvSR_
; %bb.0:
	.section	.rodata,"a",@progbits
	.p2align	6, 0x0
	.amdhsa_kernel _ZN7rocprim17ROCPRIM_400000_NS6detail17trampoline_kernelINS0_14default_configENS1_22reduce_config_selectorI18summary_stats_dataIfEEEZNS1_11reduce_implILb1ES3_N6thrust23THRUST_200600_302600_NS11hip_rocprim26transform_input_iterator_tIS6_NSA_6detail15normal_iteratorINSA_10device_ptrIfEEEE22summary_stats_unary_opIfEEEPS6_S6_23summary_stats_binary_opIfEEE10hipError_tPvRmT1_T2_T3_mT4_P12ihipStream_tbEUlT_E0_NS1_11comp_targetILNS1_3genE8ELNS1_11target_archE1030ELNS1_3gpuE2ELNS1_3repE0EEENS1_30default_config_static_selectorELNS0_4arch9wavefront6targetE0EEEvSR_
		.amdhsa_group_segment_fixed_size 0
		.amdhsa_private_segment_fixed_size 0
		.amdhsa_kernarg_size 88
		.amdhsa_user_sgpr_count 15
		.amdhsa_user_sgpr_dispatch_ptr 0
		.amdhsa_user_sgpr_queue_ptr 0
		.amdhsa_user_sgpr_kernarg_segment_ptr 1
		.amdhsa_user_sgpr_dispatch_id 0
		.amdhsa_user_sgpr_private_segment_size 0
		.amdhsa_wavefront_size32 1
		.amdhsa_uses_dynamic_stack 0
		.amdhsa_enable_private_segment 0
		.amdhsa_system_sgpr_workgroup_id_x 1
		.amdhsa_system_sgpr_workgroup_id_y 0
		.amdhsa_system_sgpr_workgroup_id_z 0
		.amdhsa_system_sgpr_workgroup_info 0
		.amdhsa_system_vgpr_workitem_id 0
		.amdhsa_next_free_vgpr 1
		.amdhsa_next_free_sgpr 1
		.amdhsa_reserve_vcc 0
		.amdhsa_float_round_mode_32 0
		.amdhsa_float_round_mode_16_64 0
		.amdhsa_float_denorm_mode_32 3
		.amdhsa_float_denorm_mode_16_64 3
		.amdhsa_dx10_clamp 1
		.amdhsa_ieee_mode 1
		.amdhsa_fp16_overflow 0
		.amdhsa_workgroup_processor_mode 1
		.amdhsa_memory_ordered 1
		.amdhsa_forward_progress 0
		.amdhsa_shared_vgpr_count 0
		.amdhsa_exception_fp_ieee_invalid_op 0
		.amdhsa_exception_fp_denorm_src 0
		.amdhsa_exception_fp_ieee_div_zero 0
		.amdhsa_exception_fp_ieee_overflow 0
		.amdhsa_exception_fp_ieee_underflow 0
		.amdhsa_exception_fp_ieee_inexact 0
		.amdhsa_exception_int_div_zero 0
	.end_amdhsa_kernel
	.section	.text._ZN7rocprim17ROCPRIM_400000_NS6detail17trampoline_kernelINS0_14default_configENS1_22reduce_config_selectorI18summary_stats_dataIfEEEZNS1_11reduce_implILb1ES3_N6thrust23THRUST_200600_302600_NS11hip_rocprim26transform_input_iterator_tIS6_NSA_6detail15normal_iteratorINSA_10device_ptrIfEEEE22summary_stats_unary_opIfEEEPS6_S6_23summary_stats_binary_opIfEEE10hipError_tPvRmT1_T2_T3_mT4_P12ihipStream_tbEUlT_E0_NS1_11comp_targetILNS1_3genE8ELNS1_11target_archE1030ELNS1_3gpuE2ELNS1_3repE0EEENS1_30default_config_static_selectorELNS0_4arch9wavefront6targetE0EEEvSR_,"axG",@progbits,_ZN7rocprim17ROCPRIM_400000_NS6detail17trampoline_kernelINS0_14default_configENS1_22reduce_config_selectorI18summary_stats_dataIfEEEZNS1_11reduce_implILb1ES3_N6thrust23THRUST_200600_302600_NS11hip_rocprim26transform_input_iterator_tIS6_NSA_6detail15normal_iteratorINSA_10device_ptrIfEEEE22summary_stats_unary_opIfEEEPS6_S6_23summary_stats_binary_opIfEEE10hipError_tPvRmT1_T2_T3_mT4_P12ihipStream_tbEUlT_E0_NS1_11comp_targetILNS1_3genE8ELNS1_11target_archE1030ELNS1_3gpuE2ELNS1_3repE0EEENS1_30default_config_static_selectorELNS0_4arch9wavefront6targetE0EEEvSR_,comdat
.Lfunc_end26:
	.size	_ZN7rocprim17ROCPRIM_400000_NS6detail17trampoline_kernelINS0_14default_configENS1_22reduce_config_selectorI18summary_stats_dataIfEEEZNS1_11reduce_implILb1ES3_N6thrust23THRUST_200600_302600_NS11hip_rocprim26transform_input_iterator_tIS6_NSA_6detail15normal_iteratorINSA_10device_ptrIfEEEE22summary_stats_unary_opIfEEEPS6_S6_23summary_stats_binary_opIfEEE10hipError_tPvRmT1_T2_T3_mT4_P12ihipStream_tbEUlT_E0_NS1_11comp_targetILNS1_3genE8ELNS1_11target_archE1030ELNS1_3gpuE2ELNS1_3repE0EEENS1_30default_config_static_selectorELNS0_4arch9wavefront6targetE0EEEvSR_, .Lfunc_end26-_ZN7rocprim17ROCPRIM_400000_NS6detail17trampoline_kernelINS0_14default_configENS1_22reduce_config_selectorI18summary_stats_dataIfEEEZNS1_11reduce_implILb1ES3_N6thrust23THRUST_200600_302600_NS11hip_rocprim26transform_input_iterator_tIS6_NSA_6detail15normal_iteratorINSA_10device_ptrIfEEEE22summary_stats_unary_opIfEEEPS6_S6_23summary_stats_binary_opIfEEE10hipError_tPvRmT1_T2_T3_mT4_P12ihipStream_tbEUlT_E0_NS1_11comp_targetILNS1_3genE8ELNS1_11target_archE1030ELNS1_3gpuE2ELNS1_3repE0EEENS1_30default_config_static_selectorELNS0_4arch9wavefront6targetE0EEEvSR_
                                        ; -- End function
	.section	.AMDGPU.csdata,"",@progbits
; Kernel info:
; codeLenInByte = 0
; NumSgprs: 0
; NumVgprs: 0
; ScratchSize: 0
; MemoryBound: 0
; FloatMode: 240
; IeeeMode: 1
; LDSByteSize: 0 bytes/workgroup (compile time only)
; SGPRBlocks: 0
; VGPRBlocks: 0
; NumSGPRsForWavesPerEU: 1
; NumVGPRsForWavesPerEU: 1
; Occupancy: 16
; WaveLimiterHint : 0
; COMPUTE_PGM_RSRC2:SCRATCH_EN: 0
; COMPUTE_PGM_RSRC2:USER_SGPR: 15
; COMPUTE_PGM_RSRC2:TRAP_HANDLER: 0
; COMPUTE_PGM_RSRC2:TGID_X_EN: 1
; COMPUTE_PGM_RSRC2:TGID_Y_EN: 0
; COMPUTE_PGM_RSRC2:TGID_Z_EN: 0
; COMPUTE_PGM_RSRC2:TIDIG_COMP_CNT: 0
	.section	.text._ZN7rocprim17ROCPRIM_400000_NS6detail17trampoline_kernelINS0_14default_configENS1_22reduce_config_selectorI18summary_stats_dataIfEEEZNS1_11reduce_implILb1ES3_N6thrust23THRUST_200600_302600_NS11hip_rocprim26transform_input_iterator_tIS6_NSA_6detail15normal_iteratorINSA_10device_ptrIfEEEE22summary_stats_unary_opIfEEEPS6_S6_23summary_stats_binary_opIfEEE10hipError_tPvRmT1_T2_T3_mT4_P12ihipStream_tbEUlT_E1_NS1_11comp_targetILNS1_3genE0ELNS1_11target_archE4294967295ELNS1_3gpuE0ELNS1_3repE0EEENS1_30default_config_static_selectorELNS0_4arch9wavefront6targetE0EEEvSR_,"axG",@progbits,_ZN7rocprim17ROCPRIM_400000_NS6detail17trampoline_kernelINS0_14default_configENS1_22reduce_config_selectorI18summary_stats_dataIfEEEZNS1_11reduce_implILb1ES3_N6thrust23THRUST_200600_302600_NS11hip_rocprim26transform_input_iterator_tIS6_NSA_6detail15normal_iteratorINSA_10device_ptrIfEEEE22summary_stats_unary_opIfEEEPS6_S6_23summary_stats_binary_opIfEEE10hipError_tPvRmT1_T2_T3_mT4_P12ihipStream_tbEUlT_E1_NS1_11comp_targetILNS1_3genE0ELNS1_11target_archE4294967295ELNS1_3gpuE0ELNS1_3repE0EEENS1_30default_config_static_selectorELNS0_4arch9wavefront6targetE0EEEvSR_,comdat
	.protected	_ZN7rocprim17ROCPRIM_400000_NS6detail17trampoline_kernelINS0_14default_configENS1_22reduce_config_selectorI18summary_stats_dataIfEEEZNS1_11reduce_implILb1ES3_N6thrust23THRUST_200600_302600_NS11hip_rocprim26transform_input_iterator_tIS6_NSA_6detail15normal_iteratorINSA_10device_ptrIfEEEE22summary_stats_unary_opIfEEEPS6_S6_23summary_stats_binary_opIfEEE10hipError_tPvRmT1_T2_T3_mT4_P12ihipStream_tbEUlT_E1_NS1_11comp_targetILNS1_3genE0ELNS1_11target_archE4294967295ELNS1_3gpuE0ELNS1_3repE0EEENS1_30default_config_static_selectorELNS0_4arch9wavefront6targetE0EEEvSR_ ; -- Begin function _ZN7rocprim17ROCPRIM_400000_NS6detail17trampoline_kernelINS0_14default_configENS1_22reduce_config_selectorI18summary_stats_dataIfEEEZNS1_11reduce_implILb1ES3_N6thrust23THRUST_200600_302600_NS11hip_rocprim26transform_input_iterator_tIS6_NSA_6detail15normal_iteratorINSA_10device_ptrIfEEEE22summary_stats_unary_opIfEEEPS6_S6_23summary_stats_binary_opIfEEE10hipError_tPvRmT1_T2_T3_mT4_P12ihipStream_tbEUlT_E1_NS1_11comp_targetILNS1_3genE0ELNS1_11target_archE4294967295ELNS1_3gpuE0ELNS1_3repE0EEENS1_30default_config_static_selectorELNS0_4arch9wavefront6targetE0EEEvSR_
	.globl	_ZN7rocprim17ROCPRIM_400000_NS6detail17trampoline_kernelINS0_14default_configENS1_22reduce_config_selectorI18summary_stats_dataIfEEEZNS1_11reduce_implILb1ES3_N6thrust23THRUST_200600_302600_NS11hip_rocprim26transform_input_iterator_tIS6_NSA_6detail15normal_iteratorINSA_10device_ptrIfEEEE22summary_stats_unary_opIfEEEPS6_S6_23summary_stats_binary_opIfEEE10hipError_tPvRmT1_T2_T3_mT4_P12ihipStream_tbEUlT_E1_NS1_11comp_targetILNS1_3genE0ELNS1_11target_archE4294967295ELNS1_3gpuE0ELNS1_3repE0EEENS1_30default_config_static_selectorELNS0_4arch9wavefront6targetE0EEEvSR_
	.p2align	8
	.type	_ZN7rocprim17ROCPRIM_400000_NS6detail17trampoline_kernelINS0_14default_configENS1_22reduce_config_selectorI18summary_stats_dataIfEEEZNS1_11reduce_implILb1ES3_N6thrust23THRUST_200600_302600_NS11hip_rocprim26transform_input_iterator_tIS6_NSA_6detail15normal_iteratorINSA_10device_ptrIfEEEE22summary_stats_unary_opIfEEEPS6_S6_23summary_stats_binary_opIfEEE10hipError_tPvRmT1_T2_T3_mT4_P12ihipStream_tbEUlT_E1_NS1_11comp_targetILNS1_3genE0ELNS1_11target_archE4294967295ELNS1_3gpuE0ELNS1_3repE0EEENS1_30default_config_static_selectorELNS0_4arch9wavefront6targetE0EEEvSR_,@function
_ZN7rocprim17ROCPRIM_400000_NS6detail17trampoline_kernelINS0_14default_configENS1_22reduce_config_selectorI18summary_stats_dataIfEEEZNS1_11reduce_implILb1ES3_N6thrust23THRUST_200600_302600_NS11hip_rocprim26transform_input_iterator_tIS6_NSA_6detail15normal_iteratorINSA_10device_ptrIfEEEE22summary_stats_unary_opIfEEEPS6_S6_23summary_stats_binary_opIfEEE10hipError_tPvRmT1_T2_T3_mT4_P12ihipStream_tbEUlT_E1_NS1_11comp_targetILNS1_3genE0ELNS1_11target_archE4294967295ELNS1_3gpuE0ELNS1_3repE0EEENS1_30default_config_static_selectorELNS0_4arch9wavefront6targetE0EEEvSR_: ; @_ZN7rocprim17ROCPRIM_400000_NS6detail17trampoline_kernelINS0_14default_configENS1_22reduce_config_selectorI18summary_stats_dataIfEEEZNS1_11reduce_implILb1ES3_N6thrust23THRUST_200600_302600_NS11hip_rocprim26transform_input_iterator_tIS6_NSA_6detail15normal_iteratorINSA_10device_ptrIfEEEE22summary_stats_unary_opIfEEEPS6_S6_23summary_stats_binary_opIfEEE10hipError_tPvRmT1_T2_T3_mT4_P12ihipStream_tbEUlT_E1_NS1_11comp_targetILNS1_3genE0ELNS1_11target_archE4294967295ELNS1_3gpuE0ELNS1_3repE0EEENS1_30default_config_static_selectorELNS0_4arch9wavefront6targetE0EEEvSR_
; %bb.0:
	.section	.rodata,"a",@progbits
	.p2align	6, 0x0
	.amdhsa_kernel _ZN7rocprim17ROCPRIM_400000_NS6detail17trampoline_kernelINS0_14default_configENS1_22reduce_config_selectorI18summary_stats_dataIfEEEZNS1_11reduce_implILb1ES3_N6thrust23THRUST_200600_302600_NS11hip_rocprim26transform_input_iterator_tIS6_NSA_6detail15normal_iteratorINSA_10device_ptrIfEEEE22summary_stats_unary_opIfEEEPS6_S6_23summary_stats_binary_opIfEEE10hipError_tPvRmT1_T2_T3_mT4_P12ihipStream_tbEUlT_E1_NS1_11comp_targetILNS1_3genE0ELNS1_11target_archE4294967295ELNS1_3gpuE0ELNS1_3repE0EEENS1_30default_config_static_selectorELNS0_4arch9wavefront6targetE0EEEvSR_
		.amdhsa_group_segment_fixed_size 0
		.amdhsa_private_segment_fixed_size 0
		.amdhsa_kernarg_size 72
		.amdhsa_user_sgpr_count 15
		.amdhsa_user_sgpr_dispatch_ptr 0
		.amdhsa_user_sgpr_queue_ptr 0
		.amdhsa_user_sgpr_kernarg_segment_ptr 1
		.amdhsa_user_sgpr_dispatch_id 0
		.amdhsa_user_sgpr_private_segment_size 0
		.amdhsa_wavefront_size32 1
		.amdhsa_uses_dynamic_stack 0
		.amdhsa_enable_private_segment 0
		.amdhsa_system_sgpr_workgroup_id_x 1
		.amdhsa_system_sgpr_workgroup_id_y 0
		.amdhsa_system_sgpr_workgroup_id_z 0
		.amdhsa_system_sgpr_workgroup_info 0
		.amdhsa_system_vgpr_workitem_id 0
		.amdhsa_next_free_vgpr 1
		.amdhsa_next_free_sgpr 1
		.amdhsa_reserve_vcc 0
		.amdhsa_float_round_mode_32 0
		.amdhsa_float_round_mode_16_64 0
		.amdhsa_float_denorm_mode_32 3
		.amdhsa_float_denorm_mode_16_64 3
		.amdhsa_dx10_clamp 1
		.amdhsa_ieee_mode 1
		.amdhsa_fp16_overflow 0
		.amdhsa_workgroup_processor_mode 1
		.amdhsa_memory_ordered 1
		.amdhsa_forward_progress 0
		.amdhsa_shared_vgpr_count 0
		.amdhsa_exception_fp_ieee_invalid_op 0
		.amdhsa_exception_fp_denorm_src 0
		.amdhsa_exception_fp_ieee_div_zero 0
		.amdhsa_exception_fp_ieee_overflow 0
		.amdhsa_exception_fp_ieee_underflow 0
		.amdhsa_exception_fp_ieee_inexact 0
		.amdhsa_exception_int_div_zero 0
	.end_amdhsa_kernel
	.section	.text._ZN7rocprim17ROCPRIM_400000_NS6detail17trampoline_kernelINS0_14default_configENS1_22reduce_config_selectorI18summary_stats_dataIfEEEZNS1_11reduce_implILb1ES3_N6thrust23THRUST_200600_302600_NS11hip_rocprim26transform_input_iterator_tIS6_NSA_6detail15normal_iteratorINSA_10device_ptrIfEEEE22summary_stats_unary_opIfEEEPS6_S6_23summary_stats_binary_opIfEEE10hipError_tPvRmT1_T2_T3_mT4_P12ihipStream_tbEUlT_E1_NS1_11comp_targetILNS1_3genE0ELNS1_11target_archE4294967295ELNS1_3gpuE0ELNS1_3repE0EEENS1_30default_config_static_selectorELNS0_4arch9wavefront6targetE0EEEvSR_,"axG",@progbits,_ZN7rocprim17ROCPRIM_400000_NS6detail17trampoline_kernelINS0_14default_configENS1_22reduce_config_selectorI18summary_stats_dataIfEEEZNS1_11reduce_implILb1ES3_N6thrust23THRUST_200600_302600_NS11hip_rocprim26transform_input_iterator_tIS6_NSA_6detail15normal_iteratorINSA_10device_ptrIfEEEE22summary_stats_unary_opIfEEEPS6_S6_23summary_stats_binary_opIfEEE10hipError_tPvRmT1_T2_T3_mT4_P12ihipStream_tbEUlT_E1_NS1_11comp_targetILNS1_3genE0ELNS1_11target_archE4294967295ELNS1_3gpuE0ELNS1_3repE0EEENS1_30default_config_static_selectorELNS0_4arch9wavefront6targetE0EEEvSR_,comdat
.Lfunc_end27:
	.size	_ZN7rocprim17ROCPRIM_400000_NS6detail17trampoline_kernelINS0_14default_configENS1_22reduce_config_selectorI18summary_stats_dataIfEEEZNS1_11reduce_implILb1ES3_N6thrust23THRUST_200600_302600_NS11hip_rocprim26transform_input_iterator_tIS6_NSA_6detail15normal_iteratorINSA_10device_ptrIfEEEE22summary_stats_unary_opIfEEEPS6_S6_23summary_stats_binary_opIfEEE10hipError_tPvRmT1_T2_T3_mT4_P12ihipStream_tbEUlT_E1_NS1_11comp_targetILNS1_3genE0ELNS1_11target_archE4294967295ELNS1_3gpuE0ELNS1_3repE0EEENS1_30default_config_static_selectorELNS0_4arch9wavefront6targetE0EEEvSR_, .Lfunc_end27-_ZN7rocprim17ROCPRIM_400000_NS6detail17trampoline_kernelINS0_14default_configENS1_22reduce_config_selectorI18summary_stats_dataIfEEEZNS1_11reduce_implILb1ES3_N6thrust23THRUST_200600_302600_NS11hip_rocprim26transform_input_iterator_tIS6_NSA_6detail15normal_iteratorINSA_10device_ptrIfEEEE22summary_stats_unary_opIfEEEPS6_S6_23summary_stats_binary_opIfEEE10hipError_tPvRmT1_T2_T3_mT4_P12ihipStream_tbEUlT_E1_NS1_11comp_targetILNS1_3genE0ELNS1_11target_archE4294967295ELNS1_3gpuE0ELNS1_3repE0EEENS1_30default_config_static_selectorELNS0_4arch9wavefront6targetE0EEEvSR_
                                        ; -- End function
	.section	.AMDGPU.csdata,"",@progbits
; Kernel info:
; codeLenInByte = 0
; NumSgprs: 0
; NumVgprs: 0
; ScratchSize: 0
; MemoryBound: 0
; FloatMode: 240
; IeeeMode: 1
; LDSByteSize: 0 bytes/workgroup (compile time only)
; SGPRBlocks: 0
; VGPRBlocks: 0
; NumSGPRsForWavesPerEU: 1
; NumVGPRsForWavesPerEU: 1
; Occupancy: 16
; WaveLimiterHint : 0
; COMPUTE_PGM_RSRC2:SCRATCH_EN: 0
; COMPUTE_PGM_RSRC2:USER_SGPR: 15
; COMPUTE_PGM_RSRC2:TRAP_HANDLER: 0
; COMPUTE_PGM_RSRC2:TGID_X_EN: 1
; COMPUTE_PGM_RSRC2:TGID_Y_EN: 0
; COMPUTE_PGM_RSRC2:TGID_Z_EN: 0
; COMPUTE_PGM_RSRC2:TIDIG_COMP_CNT: 0
	.section	.text._ZN7rocprim17ROCPRIM_400000_NS6detail17trampoline_kernelINS0_14default_configENS1_22reduce_config_selectorI18summary_stats_dataIfEEEZNS1_11reduce_implILb1ES3_N6thrust23THRUST_200600_302600_NS11hip_rocprim26transform_input_iterator_tIS6_NSA_6detail15normal_iteratorINSA_10device_ptrIfEEEE22summary_stats_unary_opIfEEEPS6_S6_23summary_stats_binary_opIfEEE10hipError_tPvRmT1_T2_T3_mT4_P12ihipStream_tbEUlT_E1_NS1_11comp_targetILNS1_3genE5ELNS1_11target_archE942ELNS1_3gpuE9ELNS1_3repE0EEENS1_30default_config_static_selectorELNS0_4arch9wavefront6targetE0EEEvSR_,"axG",@progbits,_ZN7rocprim17ROCPRIM_400000_NS6detail17trampoline_kernelINS0_14default_configENS1_22reduce_config_selectorI18summary_stats_dataIfEEEZNS1_11reduce_implILb1ES3_N6thrust23THRUST_200600_302600_NS11hip_rocprim26transform_input_iterator_tIS6_NSA_6detail15normal_iteratorINSA_10device_ptrIfEEEE22summary_stats_unary_opIfEEEPS6_S6_23summary_stats_binary_opIfEEE10hipError_tPvRmT1_T2_T3_mT4_P12ihipStream_tbEUlT_E1_NS1_11comp_targetILNS1_3genE5ELNS1_11target_archE942ELNS1_3gpuE9ELNS1_3repE0EEENS1_30default_config_static_selectorELNS0_4arch9wavefront6targetE0EEEvSR_,comdat
	.protected	_ZN7rocprim17ROCPRIM_400000_NS6detail17trampoline_kernelINS0_14default_configENS1_22reduce_config_selectorI18summary_stats_dataIfEEEZNS1_11reduce_implILb1ES3_N6thrust23THRUST_200600_302600_NS11hip_rocprim26transform_input_iterator_tIS6_NSA_6detail15normal_iteratorINSA_10device_ptrIfEEEE22summary_stats_unary_opIfEEEPS6_S6_23summary_stats_binary_opIfEEE10hipError_tPvRmT1_T2_T3_mT4_P12ihipStream_tbEUlT_E1_NS1_11comp_targetILNS1_3genE5ELNS1_11target_archE942ELNS1_3gpuE9ELNS1_3repE0EEENS1_30default_config_static_selectorELNS0_4arch9wavefront6targetE0EEEvSR_ ; -- Begin function _ZN7rocprim17ROCPRIM_400000_NS6detail17trampoline_kernelINS0_14default_configENS1_22reduce_config_selectorI18summary_stats_dataIfEEEZNS1_11reduce_implILb1ES3_N6thrust23THRUST_200600_302600_NS11hip_rocprim26transform_input_iterator_tIS6_NSA_6detail15normal_iteratorINSA_10device_ptrIfEEEE22summary_stats_unary_opIfEEEPS6_S6_23summary_stats_binary_opIfEEE10hipError_tPvRmT1_T2_T3_mT4_P12ihipStream_tbEUlT_E1_NS1_11comp_targetILNS1_3genE5ELNS1_11target_archE942ELNS1_3gpuE9ELNS1_3repE0EEENS1_30default_config_static_selectorELNS0_4arch9wavefront6targetE0EEEvSR_
	.globl	_ZN7rocprim17ROCPRIM_400000_NS6detail17trampoline_kernelINS0_14default_configENS1_22reduce_config_selectorI18summary_stats_dataIfEEEZNS1_11reduce_implILb1ES3_N6thrust23THRUST_200600_302600_NS11hip_rocprim26transform_input_iterator_tIS6_NSA_6detail15normal_iteratorINSA_10device_ptrIfEEEE22summary_stats_unary_opIfEEEPS6_S6_23summary_stats_binary_opIfEEE10hipError_tPvRmT1_T2_T3_mT4_P12ihipStream_tbEUlT_E1_NS1_11comp_targetILNS1_3genE5ELNS1_11target_archE942ELNS1_3gpuE9ELNS1_3repE0EEENS1_30default_config_static_selectorELNS0_4arch9wavefront6targetE0EEEvSR_
	.p2align	8
	.type	_ZN7rocprim17ROCPRIM_400000_NS6detail17trampoline_kernelINS0_14default_configENS1_22reduce_config_selectorI18summary_stats_dataIfEEEZNS1_11reduce_implILb1ES3_N6thrust23THRUST_200600_302600_NS11hip_rocprim26transform_input_iterator_tIS6_NSA_6detail15normal_iteratorINSA_10device_ptrIfEEEE22summary_stats_unary_opIfEEEPS6_S6_23summary_stats_binary_opIfEEE10hipError_tPvRmT1_T2_T3_mT4_P12ihipStream_tbEUlT_E1_NS1_11comp_targetILNS1_3genE5ELNS1_11target_archE942ELNS1_3gpuE9ELNS1_3repE0EEENS1_30default_config_static_selectorELNS0_4arch9wavefront6targetE0EEEvSR_,@function
_ZN7rocprim17ROCPRIM_400000_NS6detail17trampoline_kernelINS0_14default_configENS1_22reduce_config_selectorI18summary_stats_dataIfEEEZNS1_11reduce_implILb1ES3_N6thrust23THRUST_200600_302600_NS11hip_rocprim26transform_input_iterator_tIS6_NSA_6detail15normal_iteratorINSA_10device_ptrIfEEEE22summary_stats_unary_opIfEEEPS6_S6_23summary_stats_binary_opIfEEE10hipError_tPvRmT1_T2_T3_mT4_P12ihipStream_tbEUlT_E1_NS1_11comp_targetILNS1_3genE5ELNS1_11target_archE942ELNS1_3gpuE9ELNS1_3repE0EEENS1_30default_config_static_selectorELNS0_4arch9wavefront6targetE0EEEvSR_: ; @_ZN7rocprim17ROCPRIM_400000_NS6detail17trampoline_kernelINS0_14default_configENS1_22reduce_config_selectorI18summary_stats_dataIfEEEZNS1_11reduce_implILb1ES3_N6thrust23THRUST_200600_302600_NS11hip_rocprim26transform_input_iterator_tIS6_NSA_6detail15normal_iteratorINSA_10device_ptrIfEEEE22summary_stats_unary_opIfEEEPS6_S6_23summary_stats_binary_opIfEEE10hipError_tPvRmT1_T2_T3_mT4_P12ihipStream_tbEUlT_E1_NS1_11comp_targetILNS1_3genE5ELNS1_11target_archE942ELNS1_3gpuE9ELNS1_3repE0EEENS1_30default_config_static_selectorELNS0_4arch9wavefront6targetE0EEEvSR_
; %bb.0:
	.section	.rodata,"a",@progbits
	.p2align	6, 0x0
	.amdhsa_kernel _ZN7rocprim17ROCPRIM_400000_NS6detail17trampoline_kernelINS0_14default_configENS1_22reduce_config_selectorI18summary_stats_dataIfEEEZNS1_11reduce_implILb1ES3_N6thrust23THRUST_200600_302600_NS11hip_rocprim26transform_input_iterator_tIS6_NSA_6detail15normal_iteratorINSA_10device_ptrIfEEEE22summary_stats_unary_opIfEEEPS6_S6_23summary_stats_binary_opIfEEE10hipError_tPvRmT1_T2_T3_mT4_P12ihipStream_tbEUlT_E1_NS1_11comp_targetILNS1_3genE5ELNS1_11target_archE942ELNS1_3gpuE9ELNS1_3repE0EEENS1_30default_config_static_selectorELNS0_4arch9wavefront6targetE0EEEvSR_
		.amdhsa_group_segment_fixed_size 0
		.amdhsa_private_segment_fixed_size 0
		.amdhsa_kernarg_size 72
		.amdhsa_user_sgpr_count 15
		.amdhsa_user_sgpr_dispatch_ptr 0
		.amdhsa_user_sgpr_queue_ptr 0
		.amdhsa_user_sgpr_kernarg_segment_ptr 1
		.amdhsa_user_sgpr_dispatch_id 0
		.amdhsa_user_sgpr_private_segment_size 0
		.amdhsa_wavefront_size32 1
		.amdhsa_uses_dynamic_stack 0
		.amdhsa_enable_private_segment 0
		.amdhsa_system_sgpr_workgroup_id_x 1
		.amdhsa_system_sgpr_workgroup_id_y 0
		.amdhsa_system_sgpr_workgroup_id_z 0
		.amdhsa_system_sgpr_workgroup_info 0
		.amdhsa_system_vgpr_workitem_id 0
		.amdhsa_next_free_vgpr 1
		.amdhsa_next_free_sgpr 1
		.amdhsa_reserve_vcc 0
		.amdhsa_float_round_mode_32 0
		.amdhsa_float_round_mode_16_64 0
		.amdhsa_float_denorm_mode_32 3
		.amdhsa_float_denorm_mode_16_64 3
		.amdhsa_dx10_clamp 1
		.amdhsa_ieee_mode 1
		.amdhsa_fp16_overflow 0
		.amdhsa_workgroup_processor_mode 1
		.amdhsa_memory_ordered 1
		.amdhsa_forward_progress 0
		.amdhsa_shared_vgpr_count 0
		.amdhsa_exception_fp_ieee_invalid_op 0
		.amdhsa_exception_fp_denorm_src 0
		.amdhsa_exception_fp_ieee_div_zero 0
		.amdhsa_exception_fp_ieee_overflow 0
		.amdhsa_exception_fp_ieee_underflow 0
		.amdhsa_exception_fp_ieee_inexact 0
		.amdhsa_exception_int_div_zero 0
	.end_amdhsa_kernel
	.section	.text._ZN7rocprim17ROCPRIM_400000_NS6detail17trampoline_kernelINS0_14default_configENS1_22reduce_config_selectorI18summary_stats_dataIfEEEZNS1_11reduce_implILb1ES3_N6thrust23THRUST_200600_302600_NS11hip_rocprim26transform_input_iterator_tIS6_NSA_6detail15normal_iteratorINSA_10device_ptrIfEEEE22summary_stats_unary_opIfEEEPS6_S6_23summary_stats_binary_opIfEEE10hipError_tPvRmT1_T2_T3_mT4_P12ihipStream_tbEUlT_E1_NS1_11comp_targetILNS1_3genE5ELNS1_11target_archE942ELNS1_3gpuE9ELNS1_3repE0EEENS1_30default_config_static_selectorELNS0_4arch9wavefront6targetE0EEEvSR_,"axG",@progbits,_ZN7rocprim17ROCPRIM_400000_NS6detail17trampoline_kernelINS0_14default_configENS1_22reduce_config_selectorI18summary_stats_dataIfEEEZNS1_11reduce_implILb1ES3_N6thrust23THRUST_200600_302600_NS11hip_rocprim26transform_input_iterator_tIS6_NSA_6detail15normal_iteratorINSA_10device_ptrIfEEEE22summary_stats_unary_opIfEEEPS6_S6_23summary_stats_binary_opIfEEE10hipError_tPvRmT1_T2_T3_mT4_P12ihipStream_tbEUlT_E1_NS1_11comp_targetILNS1_3genE5ELNS1_11target_archE942ELNS1_3gpuE9ELNS1_3repE0EEENS1_30default_config_static_selectorELNS0_4arch9wavefront6targetE0EEEvSR_,comdat
.Lfunc_end28:
	.size	_ZN7rocprim17ROCPRIM_400000_NS6detail17trampoline_kernelINS0_14default_configENS1_22reduce_config_selectorI18summary_stats_dataIfEEEZNS1_11reduce_implILb1ES3_N6thrust23THRUST_200600_302600_NS11hip_rocprim26transform_input_iterator_tIS6_NSA_6detail15normal_iteratorINSA_10device_ptrIfEEEE22summary_stats_unary_opIfEEEPS6_S6_23summary_stats_binary_opIfEEE10hipError_tPvRmT1_T2_T3_mT4_P12ihipStream_tbEUlT_E1_NS1_11comp_targetILNS1_3genE5ELNS1_11target_archE942ELNS1_3gpuE9ELNS1_3repE0EEENS1_30default_config_static_selectorELNS0_4arch9wavefront6targetE0EEEvSR_, .Lfunc_end28-_ZN7rocprim17ROCPRIM_400000_NS6detail17trampoline_kernelINS0_14default_configENS1_22reduce_config_selectorI18summary_stats_dataIfEEEZNS1_11reduce_implILb1ES3_N6thrust23THRUST_200600_302600_NS11hip_rocprim26transform_input_iterator_tIS6_NSA_6detail15normal_iteratorINSA_10device_ptrIfEEEE22summary_stats_unary_opIfEEEPS6_S6_23summary_stats_binary_opIfEEE10hipError_tPvRmT1_T2_T3_mT4_P12ihipStream_tbEUlT_E1_NS1_11comp_targetILNS1_3genE5ELNS1_11target_archE942ELNS1_3gpuE9ELNS1_3repE0EEENS1_30default_config_static_selectorELNS0_4arch9wavefront6targetE0EEEvSR_
                                        ; -- End function
	.section	.AMDGPU.csdata,"",@progbits
; Kernel info:
; codeLenInByte = 0
; NumSgprs: 0
; NumVgprs: 0
; ScratchSize: 0
; MemoryBound: 0
; FloatMode: 240
; IeeeMode: 1
; LDSByteSize: 0 bytes/workgroup (compile time only)
; SGPRBlocks: 0
; VGPRBlocks: 0
; NumSGPRsForWavesPerEU: 1
; NumVGPRsForWavesPerEU: 1
; Occupancy: 16
; WaveLimiterHint : 0
; COMPUTE_PGM_RSRC2:SCRATCH_EN: 0
; COMPUTE_PGM_RSRC2:USER_SGPR: 15
; COMPUTE_PGM_RSRC2:TRAP_HANDLER: 0
; COMPUTE_PGM_RSRC2:TGID_X_EN: 1
; COMPUTE_PGM_RSRC2:TGID_Y_EN: 0
; COMPUTE_PGM_RSRC2:TGID_Z_EN: 0
; COMPUTE_PGM_RSRC2:TIDIG_COMP_CNT: 0
	.section	.text._ZN7rocprim17ROCPRIM_400000_NS6detail17trampoline_kernelINS0_14default_configENS1_22reduce_config_selectorI18summary_stats_dataIfEEEZNS1_11reduce_implILb1ES3_N6thrust23THRUST_200600_302600_NS11hip_rocprim26transform_input_iterator_tIS6_NSA_6detail15normal_iteratorINSA_10device_ptrIfEEEE22summary_stats_unary_opIfEEEPS6_S6_23summary_stats_binary_opIfEEE10hipError_tPvRmT1_T2_T3_mT4_P12ihipStream_tbEUlT_E1_NS1_11comp_targetILNS1_3genE4ELNS1_11target_archE910ELNS1_3gpuE8ELNS1_3repE0EEENS1_30default_config_static_selectorELNS0_4arch9wavefront6targetE0EEEvSR_,"axG",@progbits,_ZN7rocprim17ROCPRIM_400000_NS6detail17trampoline_kernelINS0_14default_configENS1_22reduce_config_selectorI18summary_stats_dataIfEEEZNS1_11reduce_implILb1ES3_N6thrust23THRUST_200600_302600_NS11hip_rocprim26transform_input_iterator_tIS6_NSA_6detail15normal_iteratorINSA_10device_ptrIfEEEE22summary_stats_unary_opIfEEEPS6_S6_23summary_stats_binary_opIfEEE10hipError_tPvRmT1_T2_T3_mT4_P12ihipStream_tbEUlT_E1_NS1_11comp_targetILNS1_3genE4ELNS1_11target_archE910ELNS1_3gpuE8ELNS1_3repE0EEENS1_30default_config_static_selectorELNS0_4arch9wavefront6targetE0EEEvSR_,comdat
	.protected	_ZN7rocprim17ROCPRIM_400000_NS6detail17trampoline_kernelINS0_14default_configENS1_22reduce_config_selectorI18summary_stats_dataIfEEEZNS1_11reduce_implILb1ES3_N6thrust23THRUST_200600_302600_NS11hip_rocprim26transform_input_iterator_tIS6_NSA_6detail15normal_iteratorINSA_10device_ptrIfEEEE22summary_stats_unary_opIfEEEPS6_S6_23summary_stats_binary_opIfEEE10hipError_tPvRmT1_T2_T3_mT4_P12ihipStream_tbEUlT_E1_NS1_11comp_targetILNS1_3genE4ELNS1_11target_archE910ELNS1_3gpuE8ELNS1_3repE0EEENS1_30default_config_static_selectorELNS0_4arch9wavefront6targetE0EEEvSR_ ; -- Begin function _ZN7rocprim17ROCPRIM_400000_NS6detail17trampoline_kernelINS0_14default_configENS1_22reduce_config_selectorI18summary_stats_dataIfEEEZNS1_11reduce_implILb1ES3_N6thrust23THRUST_200600_302600_NS11hip_rocprim26transform_input_iterator_tIS6_NSA_6detail15normal_iteratorINSA_10device_ptrIfEEEE22summary_stats_unary_opIfEEEPS6_S6_23summary_stats_binary_opIfEEE10hipError_tPvRmT1_T2_T3_mT4_P12ihipStream_tbEUlT_E1_NS1_11comp_targetILNS1_3genE4ELNS1_11target_archE910ELNS1_3gpuE8ELNS1_3repE0EEENS1_30default_config_static_selectorELNS0_4arch9wavefront6targetE0EEEvSR_
	.globl	_ZN7rocprim17ROCPRIM_400000_NS6detail17trampoline_kernelINS0_14default_configENS1_22reduce_config_selectorI18summary_stats_dataIfEEEZNS1_11reduce_implILb1ES3_N6thrust23THRUST_200600_302600_NS11hip_rocprim26transform_input_iterator_tIS6_NSA_6detail15normal_iteratorINSA_10device_ptrIfEEEE22summary_stats_unary_opIfEEEPS6_S6_23summary_stats_binary_opIfEEE10hipError_tPvRmT1_T2_T3_mT4_P12ihipStream_tbEUlT_E1_NS1_11comp_targetILNS1_3genE4ELNS1_11target_archE910ELNS1_3gpuE8ELNS1_3repE0EEENS1_30default_config_static_selectorELNS0_4arch9wavefront6targetE0EEEvSR_
	.p2align	8
	.type	_ZN7rocprim17ROCPRIM_400000_NS6detail17trampoline_kernelINS0_14default_configENS1_22reduce_config_selectorI18summary_stats_dataIfEEEZNS1_11reduce_implILb1ES3_N6thrust23THRUST_200600_302600_NS11hip_rocprim26transform_input_iterator_tIS6_NSA_6detail15normal_iteratorINSA_10device_ptrIfEEEE22summary_stats_unary_opIfEEEPS6_S6_23summary_stats_binary_opIfEEE10hipError_tPvRmT1_T2_T3_mT4_P12ihipStream_tbEUlT_E1_NS1_11comp_targetILNS1_3genE4ELNS1_11target_archE910ELNS1_3gpuE8ELNS1_3repE0EEENS1_30default_config_static_selectorELNS0_4arch9wavefront6targetE0EEEvSR_,@function
_ZN7rocprim17ROCPRIM_400000_NS6detail17trampoline_kernelINS0_14default_configENS1_22reduce_config_selectorI18summary_stats_dataIfEEEZNS1_11reduce_implILb1ES3_N6thrust23THRUST_200600_302600_NS11hip_rocprim26transform_input_iterator_tIS6_NSA_6detail15normal_iteratorINSA_10device_ptrIfEEEE22summary_stats_unary_opIfEEEPS6_S6_23summary_stats_binary_opIfEEE10hipError_tPvRmT1_T2_T3_mT4_P12ihipStream_tbEUlT_E1_NS1_11comp_targetILNS1_3genE4ELNS1_11target_archE910ELNS1_3gpuE8ELNS1_3repE0EEENS1_30default_config_static_selectorELNS0_4arch9wavefront6targetE0EEEvSR_: ; @_ZN7rocprim17ROCPRIM_400000_NS6detail17trampoline_kernelINS0_14default_configENS1_22reduce_config_selectorI18summary_stats_dataIfEEEZNS1_11reduce_implILb1ES3_N6thrust23THRUST_200600_302600_NS11hip_rocprim26transform_input_iterator_tIS6_NSA_6detail15normal_iteratorINSA_10device_ptrIfEEEE22summary_stats_unary_opIfEEEPS6_S6_23summary_stats_binary_opIfEEE10hipError_tPvRmT1_T2_T3_mT4_P12ihipStream_tbEUlT_E1_NS1_11comp_targetILNS1_3genE4ELNS1_11target_archE910ELNS1_3gpuE8ELNS1_3repE0EEENS1_30default_config_static_selectorELNS0_4arch9wavefront6targetE0EEEvSR_
; %bb.0:
	.section	.rodata,"a",@progbits
	.p2align	6, 0x0
	.amdhsa_kernel _ZN7rocprim17ROCPRIM_400000_NS6detail17trampoline_kernelINS0_14default_configENS1_22reduce_config_selectorI18summary_stats_dataIfEEEZNS1_11reduce_implILb1ES3_N6thrust23THRUST_200600_302600_NS11hip_rocprim26transform_input_iterator_tIS6_NSA_6detail15normal_iteratorINSA_10device_ptrIfEEEE22summary_stats_unary_opIfEEEPS6_S6_23summary_stats_binary_opIfEEE10hipError_tPvRmT1_T2_T3_mT4_P12ihipStream_tbEUlT_E1_NS1_11comp_targetILNS1_3genE4ELNS1_11target_archE910ELNS1_3gpuE8ELNS1_3repE0EEENS1_30default_config_static_selectorELNS0_4arch9wavefront6targetE0EEEvSR_
		.amdhsa_group_segment_fixed_size 0
		.amdhsa_private_segment_fixed_size 0
		.amdhsa_kernarg_size 72
		.amdhsa_user_sgpr_count 15
		.amdhsa_user_sgpr_dispatch_ptr 0
		.amdhsa_user_sgpr_queue_ptr 0
		.amdhsa_user_sgpr_kernarg_segment_ptr 1
		.amdhsa_user_sgpr_dispatch_id 0
		.amdhsa_user_sgpr_private_segment_size 0
		.amdhsa_wavefront_size32 1
		.amdhsa_uses_dynamic_stack 0
		.amdhsa_enable_private_segment 0
		.amdhsa_system_sgpr_workgroup_id_x 1
		.amdhsa_system_sgpr_workgroup_id_y 0
		.amdhsa_system_sgpr_workgroup_id_z 0
		.amdhsa_system_sgpr_workgroup_info 0
		.amdhsa_system_vgpr_workitem_id 0
		.amdhsa_next_free_vgpr 1
		.amdhsa_next_free_sgpr 1
		.amdhsa_reserve_vcc 0
		.amdhsa_float_round_mode_32 0
		.amdhsa_float_round_mode_16_64 0
		.amdhsa_float_denorm_mode_32 3
		.amdhsa_float_denorm_mode_16_64 3
		.amdhsa_dx10_clamp 1
		.amdhsa_ieee_mode 1
		.amdhsa_fp16_overflow 0
		.amdhsa_workgroup_processor_mode 1
		.amdhsa_memory_ordered 1
		.amdhsa_forward_progress 0
		.amdhsa_shared_vgpr_count 0
		.amdhsa_exception_fp_ieee_invalid_op 0
		.amdhsa_exception_fp_denorm_src 0
		.amdhsa_exception_fp_ieee_div_zero 0
		.amdhsa_exception_fp_ieee_overflow 0
		.amdhsa_exception_fp_ieee_underflow 0
		.amdhsa_exception_fp_ieee_inexact 0
		.amdhsa_exception_int_div_zero 0
	.end_amdhsa_kernel
	.section	.text._ZN7rocprim17ROCPRIM_400000_NS6detail17trampoline_kernelINS0_14default_configENS1_22reduce_config_selectorI18summary_stats_dataIfEEEZNS1_11reduce_implILb1ES3_N6thrust23THRUST_200600_302600_NS11hip_rocprim26transform_input_iterator_tIS6_NSA_6detail15normal_iteratorINSA_10device_ptrIfEEEE22summary_stats_unary_opIfEEEPS6_S6_23summary_stats_binary_opIfEEE10hipError_tPvRmT1_T2_T3_mT4_P12ihipStream_tbEUlT_E1_NS1_11comp_targetILNS1_3genE4ELNS1_11target_archE910ELNS1_3gpuE8ELNS1_3repE0EEENS1_30default_config_static_selectorELNS0_4arch9wavefront6targetE0EEEvSR_,"axG",@progbits,_ZN7rocprim17ROCPRIM_400000_NS6detail17trampoline_kernelINS0_14default_configENS1_22reduce_config_selectorI18summary_stats_dataIfEEEZNS1_11reduce_implILb1ES3_N6thrust23THRUST_200600_302600_NS11hip_rocprim26transform_input_iterator_tIS6_NSA_6detail15normal_iteratorINSA_10device_ptrIfEEEE22summary_stats_unary_opIfEEEPS6_S6_23summary_stats_binary_opIfEEE10hipError_tPvRmT1_T2_T3_mT4_P12ihipStream_tbEUlT_E1_NS1_11comp_targetILNS1_3genE4ELNS1_11target_archE910ELNS1_3gpuE8ELNS1_3repE0EEENS1_30default_config_static_selectorELNS0_4arch9wavefront6targetE0EEEvSR_,comdat
.Lfunc_end29:
	.size	_ZN7rocprim17ROCPRIM_400000_NS6detail17trampoline_kernelINS0_14default_configENS1_22reduce_config_selectorI18summary_stats_dataIfEEEZNS1_11reduce_implILb1ES3_N6thrust23THRUST_200600_302600_NS11hip_rocprim26transform_input_iterator_tIS6_NSA_6detail15normal_iteratorINSA_10device_ptrIfEEEE22summary_stats_unary_opIfEEEPS6_S6_23summary_stats_binary_opIfEEE10hipError_tPvRmT1_T2_T3_mT4_P12ihipStream_tbEUlT_E1_NS1_11comp_targetILNS1_3genE4ELNS1_11target_archE910ELNS1_3gpuE8ELNS1_3repE0EEENS1_30default_config_static_selectorELNS0_4arch9wavefront6targetE0EEEvSR_, .Lfunc_end29-_ZN7rocprim17ROCPRIM_400000_NS6detail17trampoline_kernelINS0_14default_configENS1_22reduce_config_selectorI18summary_stats_dataIfEEEZNS1_11reduce_implILb1ES3_N6thrust23THRUST_200600_302600_NS11hip_rocprim26transform_input_iterator_tIS6_NSA_6detail15normal_iteratorINSA_10device_ptrIfEEEE22summary_stats_unary_opIfEEEPS6_S6_23summary_stats_binary_opIfEEE10hipError_tPvRmT1_T2_T3_mT4_P12ihipStream_tbEUlT_E1_NS1_11comp_targetILNS1_3genE4ELNS1_11target_archE910ELNS1_3gpuE8ELNS1_3repE0EEENS1_30default_config_static_selectorELNS0_4arch9wavefront6targetE0EEEvSR_
                                        ; -- End function
	.section	.AMDGPU.csdata,"",@progbits
; Kernel info:
; codeLenInByte = 0
; NumSgprs: 0
; NumVgprs: 0
; ScratchSize: 0
; MemoryBound: 0
; FloatMode: 240
; IeeeMode: 1
; LDSByteSize: 0 bytes/workgroup (compile time only)
; SGPRBlocks: 0
; VGPRBlocks: 0
; NumSGPRsForWavesPerEU: 1
; NumVGPRsForWavesPerEU: 1
; Occupancy: 16
; WaveLimiterHint : 0
; COMPUTE_PGM_RSRC2:SCRATCH_EN: 0
; COMPUTE_PGM_RSRC2:USER_SGPR: 15
; COMPUTE_PGM_RSRC2:TRAP_HANDLER: 0
; COMPUTE_PGM_RSRC2:TGID_X_EN: 1
; COMPUTE_PGM_RSRC2:TGID_Y_EN: 0
; COMPUTE_PGM_RSRC2:TGID_Z_EN: 0
; COMPUTE_PGM_RSRC2:TIDIG_COMP_CNT: 0
	.section	.text._ZN7rocprim17ROCPRIM_400000_NS6detail17trampoline_kernelINS0_14default_configENS1_22reduce_config_selectorI18summary_stats_dataIfEEEZNS1_11reduce_implILb1ES3_N6thrust23THRUST_200600_302600_NS11hip_rocprim26transform_input_iterator_tIS6_NSA_6detail15normal_iteratorINSA_10device_ptrIfEEEE22summary_stats_unary_opIfEEEPS6_S6_23summary_stats_binary_opIfEEE10hipError_tPvRmT1_T2_T3_mT4_P12ihipStream_tbEUlT_E1_NS1_11comp_targetILNS1_3genE3ELNS1_11target_archE908ELNS1_3gpuE7ELNS1_3repE0EEENS1_30default_config_static_selectorELNS0_4arch9wavefront6targetE0EEEvSR_,"axG",@progbits,_ZN7rocprim17ROCPRIM_400000_NS6detail17trampoline_kernelINS0_14default_configENS1_22reduce_config_selectorI18summary_stats_dataIfEEEZNS1_11reduce_implILb1ES3_N6thrust23THRUST_200600_302600_NS11hip_rocprim26transform_input_iterator_tIS6_NSA_6detail15normal_iteratorINSA_10device_ptrIfEEEE22summary_stats_unary_opIfEEEPS6_S6_23summary_stats_binary_opIfEEE10hipError_tPvRmT1_T2_T3_mT4_P12ihipStream_tbEUlT_E1_NS1_11comp_targetILNS1_3genE3ELNS1_11target_archE908ELNS1_3gpuE7ELNS1_3repE0EEENS1_30default_config_static_selectorELNS0_4arch9wavefront6targetE0EEEvSR_,comdat
	.protected	_ZN7rocprim17ROCPRIM_400000_NS6detail17trampoline_kernelINS0_14default_configENS1_22reduce_config_selectorI18summary_stats_dataIfEEEZNS1_11reduce_implILb1ES3_N6thrust23THRUST_200600_302600_NS11hip_rocprim26transform_input_iterator_tIS6_NSA_6detail15normal_iteratorINSA_10device_ptrIfEEEE22summary_stats_unary_opIfEEEPS6_S6_23summary_stats_binary_opIfEEE10hipError_tPvRmT1_T2_T3_mT4_P12ihipStream_tbEUlT_E1_NS1_11comp_targetILNS1_3genE3ELNS1_11target_archE908ELNS1_3gpuE7ELNS1_3repE0EEENS1_30default_config_static_selectorELNS0_4arch9wavefront6targetE0EEEvSR_ ; -- Begin function _ZN7rocprim17ROCPRIM_400000_NS6detail17trampoline_kernelINS0_14default_configENS1_22reduce_config_selectorI18summary_stats_dataIfEEEZNS1_11reduce_implILb1ES3_N6thrust23THRUST_200600_302600_NS11hip_rocprim26transform_input_iterator_tIS6_NSA_6detail15normal_iteratorINSA_10device_ptrIfEEEE22summary_stats_unary_opIfEEEPS6_S6_23summary_stats_binary_opIfEEE10hipError_tPvRmT1_T2_T3_mT4_P12ihipStream_tbEUlT_E1_NS1_11comp_targetILNS1_3genE3ELNS1_11target_archE908ELNS1_3gpuE7ELNS1_3repE0EEENS1_30default_config_static_selectorELNS0_4arch9wavefront6targetE0EEEvSR_
	.globl	_ZN7rocprim17ROCPRIM_400000_NS6detail17trampoline_kernelINS0_14default_configENS1_22reduce_config_selectorI18summary_stats_dataIfEEEZNS1_11reduce_implILb1ES3_N6thrust23THRUST_200600_302600_NS11hip_rocprim26transform_input_iterator_tIS6_NSA_6detail15normal_iteratorINSA_10device_ptrIfEEEE22summary_stats_unary_opIfEEEPS6_S6_23summary_stats_binary_opIfEEE10hipError_tPvRmT1_T2_T3_mT4_P12ihipStream_tbEUlT_E1_NS1_11comp_targetILNS1_3genE3ELNS1_11target_archE908ELNS1_3gpuE7ELNS1_3repE0EEENS1_30default_config_static_selectorELNS0_4arch9wavefront6targetE0EEEvSR_
	.p2align	8
	.type	_ZN7rocprim17ROCPRIM_400000_NS6detail17trampoline_kernelINS0_14default_configENS1_22reduce_config_selectorI18summary_stats_dataIfEEEZNS1_11reduce_implILb1ES3_N6thrust23THRUST_200600_302600_NS11hip_rocprim26transform_input_iterator_tIS6_NSA_6detail15normal_iteratorINSA_10device_ptrIfEEEE22summary_stats_unary_opIfEEEPS6_S6_23summary_stats_binary_opIfEEE10hipError_tPvRmT1_T2_T3_mT4_P12ihipStream_tbEUlT_E1_NS1_11comp_targetILNS1_3genE3ELNS1_11target_archE908ELNS1_3gpuE7ELNS1_3repE0EEENS1_30default_config_static_selectorELNS0_4arch9wavefront6targetE0EEEvSR_,@function
_ZN7rocprim17ROCPRIM_400000_NS6detail17trampoline_kernelINS0_14default_configENS1_22reduce_config_selectorI18summary_stats_dataIfEEEZNS1_11reduce_implILb1ES3_N6thrust23THRUST_200600_302600_NS11hip_rocprim26transform_input_iterator_tIS6_NSA_6detail15normal_iteratorINSA_10device_ptrIfEEEE22summary_stats_unary_opIfEEEPS6_S6_23summary_stats_binary_opIfEEE10hipError_tPvRmT1_T2_T3_mT4_P12ihipStream_tbEUlT_E1_NS1_11comp_targetILNS1_3genE3ELNS1_11target_archE908ELNS1_3gpuE7ELNS1_3repE0EEENS1_30default_config_static_selectorELNS0_4arch9wavefront6targetE0EEEvSR_: ; @_ZN7rocprim17ROCPRIM_400000_NS6detail17trampoline_kernelINS0_14default_configENS1_22reduce_config_selectorI18summary_stats_dataIfEEEZNS1_11reduce_implILb1ES3_N6thrust23THRUST_200600_302600_NS11hip_rocprim26transform_input_iterator_tIS6_NSA_6detail15normal_iteratorINSA_10device_ptrIfEEEE22summary_stats_unary_opIfEEEPS6_S6_23summary_stats_binary_opIfEEE10hipError_tPvRmT1_T2_T3_mT4_P12ihipStream_tbEUlT_E1_NS1_11comp_targetILNS1_3genE3ELNS1_11target_archE908ELNS1_3gpuE7ELNS1_3repE0EEENS1_30default_config_static_selectorELNS0_4arch9wavefront6targetE0EEEvSR_
; %bb.0:
	.section	.rodata,"a",@progbits
	.p2align	6, 0x0
	.amdhsa_kernel _ZN7rocprim17ROCPRIM_400000_NS6detail17trampoline_kernelINS0_14default_configENS1_22reduce_config_selectorI18summary_stats_dataIfEEEZNS1_11reduce_implILb1ES3_N6thrust23THRUST_200600_302600_NS11hip_rocprim26transform_input_iterator_tIS6_NSA_6detail15normal_iteratorINSA_10device_ptrIfEEEE22summary_stats_unary_opIfEEEPS6_S6_23summary_stats_binary_opIfEEE10hipError_tPvRmT1_T2_T3_mT4_P12ihipStream_tbEUlT_E1_NS1_11comp_targetILNS1_3genE3ELNS1_11target_archE908ELNS1_3gpuE7ELNS1_3repE0EEENS1_30default_config_static_selectorELNS0_4arch9wavefront6targetE0EEEvSR_
		.amdhsa_group_segment_fixed_size 0
		.amdhsa_private_segment_fixed_size 0
		.amdhsa_kernarg_size 72
		.amdhsa_user_sgpr_count 15
		.amdhsa_user_sgpr_dispatch_ptr 0
		.amdhsa_user_sgpr_queue_ptr 0
		.amdhsa_user_sgpr_kernarg_segment_ptr 1
		.amdhsa_user_sgpr_dispatch_id 0
		.amdhsa_user_sgpr_private_segment_size 0
		.amdhsa_wavefront_size32 1
		.amdhsa_uses_dynamic_stack 0
		.amdhsa_enable_private_segment 0
		.amdhsa_system_sgpr_workgroup_id_x 1
		.amdhsa_system_sgpr_workgroup_id_y 0
		.amdhsa_system_sgpr_workgroup_id_z 0
		.amdhsa_system_sgpr_workgroup_info 0
		.amdhsa_system_vgpr_workitem_id 0
		.amdhsa_next_free_vgpr 1
		.amdhsa_next_free_sgpr 1
		.amdhsa_reserve_vcc 0
		.amdhsa_float_round_mode_32 0
		.amdhsa_float_round_mode_16_64 0
		.amdhsa_float_denorm_mode_32 3
		.amdhsa_float_denorm_mode_16_64 3
		.amdhsa_dx10_clamp 1
		.amdhsa_ieee_mode 1
		.amdhsa_fp16_overflow 0
		.amdhsa_workgroup_processor_mode 1
		.amdhsa_memory_ordered 1
		.amdhsa_forward_progress 0
		.amdhsa_shared_vgpr_count 0
		.amdhsa_exception_fp_ieee_invalid_op 0
		.amdhsa_exception_fp_denorm_src 0
		.amdhsa_exception_fp_ieee_div_zero 0
		.amdhsa_exception_fp_ieee_overflow 0
		.amdhsa_exception_fp_ieee_underflow 0
		.amdhsa_exception_fp_ieee_inexact 0
		.amdhsa_exception_int_div_zero 0
	.end_amdhsa_kernel
	.section	.text._ZN7rocprim17ROCPRIM_400000_NS6detail17trampoline_kernelINS0_14default_configENS1_22reduce_config_selectorI18summary_stats_dataIfEEEZNS1_11reduce_implILb1ES3_N6thrust23THRUST_200600_302600_NS11hip_rocprim26transform_input_iterator_tIS6_NSA_6detail15normal_iteratorINSA_10device_ptrIfEEEE22summary_stats_unary_opIfEEEPS6_S6_23summary_stats_binary_opIfEEE10hipError_tPvRmT1_T2_T3_mT4_P12ihipStream_tbEUlT_E1_NS1_11comp_targetILNS1_3genE3ELNS1_11target_archE908ELNS1_3gpuE7ELNS1_3repE0EEENS1_30default_config_static_selectorELNS0_4arch9wavefront6targetE0EEEvSR_,"axG",@progbits,_ZN7rocprim17ROCPRIM_400000_NS6detail17trampoline_kernelINS0_14default_configENS1_22reduce_config_selectorI18summary_stats_dataIfEEEZNS1_11reduce_implILb1ES3_N6thrust23THRUST_200600_302600_NS11hip_rocprim26transform_input_iterator_tIS6_NSA_6detail15normal_iteratorINSA_10device_ptrIfEEEE22summary_stats_unary_opIfEEEPS6_S6_23summary_stats_binary_opIfEEE10hipError_tPvRmT1_T2_T3_mT4_P12ihipStream_tbEUlT_E1_NS1_11comp_targetILNS1_3genE3ELNS1_11target_archE908ELNS1_3gpuE7ELNS1_3repE0EEENS1_30default_config_static_selectorELNS0_4arch9wavefront6targetE0EEEvSR_,comdat
.Lfunc_end30:
	.size	_ZN7rocprim17ROCPRIM_400000_NS6detail17trampoline_kernelINS0_14default_configENS1_22reduce_config_selectorI18summary_stats_dataIfEEEZNS1_11reduce_implILb1ES3_N6thrust23THRUST_200600_302600_NS11hip_rocprim26transform_input_iterator_tIS6_NSA_6detail15normal_iteratorINSA_10device_ptrIfEEEE22summary_stats_unary_opIfEEEPS6_S6_23summary_stats_binary_opIfEEE10hipError_tPvRmT1_T2_T3_mT4_P12ihipStream_tbEUlT_E1_NS1_11comp_targetILNS1_3genE3ELNS1_11target_archE908ELNS1_3gpuE7ELNS1_3repE0EEENS1_30default_config_static_selectorELNS0_4arch9wavefront6targetE0EEEvSR_, .Lfunc_end30-_ZN7rocprim17ROCPRIM_400000_NS6detail17trampoline_kernelINS0_14default_configENS1_22reduce_config_selectorI18summary_stats_dataIfEEEZNS1_11reduce_implILb1ES3_N6thrust23THRUST_200600_302600_NS11hip_rocprim26transform_input_iterator_tIS6_NSA_6detail15normal_iteratorINSA_10device_ptrIfEEEE22summary_stats_unary_opIfEEEPS6_S6_23summary_stats_binary_opIfEEE10hipError_tPvRmT1_T2_T3_mT4_P12ihipStream_tbEUlT_E1_NS1_11comp_targetILNS1_3genE3ELNS1_11target_archE908ELNS1_3gpuE7ELNS1_3repE0EEENS1_30default_config_static_selectorELNS0_4arch9wavefront6targetE0EEEvSR_
                                        ; -- End function
	.section	.AMDGPU.csdata,"",@progbits
; Kernel info:
; codeLenInByte = 0
; NumSgprs: 0
; NumVgprs: 0
; ScratchSize: 0
; MemoryBound: 0
; FloatMode: 240
; IeeeMode: 1
; LDSByteSize: 0 bytes/workgroup (compile time only)
; SGPRBlocks: 0
; VGPRBlocks: 0
; NumSGPRsForWavesPerEU: 1
; NumVGPRsForWavesPerEU: 1
; Occupancy: 16
; WaveLimiterHint : 0
; COMPUTE_PGM_RSRC2:SCRATCH_EN: 0
; COMPUTE_PGM_RSRC2:USER_SGPR: 15
; COMPUTE_PGM_RSRC2:TRAP_HANDLER: 0
; COMPUTE_PGM_RSRC2:TGID_X_EN: 1
; COMPUTE_PGM_RSRC2:TGID_Y_EN: 0
; COMPUTE_PGM_RSRC2:TGID_Z_EN: 0
; COMPUTE_PGM_RSRC2:TIDIG_COMP_CNT: 0
	.section	.text._ZN7rocprim17ROCPRIM_400000_NS6detail17trampoline_kernelINS0_14default_configENS1_22reduce_config_selectorI18summary_stats_dataIfEEEZNS1_11reduce_implILb1ES3_N6thrust23THRUST_200600_302600_NS11hip_rocprim26transform_input_iterator_tIS6_NSA_6detail15normal_iteratorINSA_10device_ptrIfEEEE22summary_stats_unary_opIfEEEPS6_S6_23summary_stats_binary_opIfEEE10hipError_tPvRmT1_T2_T3_mT4_P12ihipStream_tbEUlT_E1_NS1_11comp_targetILNS1_3genE2ELNS1_11target_archE906ELNS1_3gpuE6ELNS1_3repE0EEENS1_30default_config_static_selectorELNS0_4arch9wavefront6targetE0EEEvSR_,"axG",@progbits,_ZN7rocprim17ROCPRIM_400000_NS6detail17trampoline_kernelINS0_14default_configENS1_22reduce_config_selectorI18summary_stats_dataIfEEEZNS1_11reduce_implILb1ES3_N6thrust23THRUST_200600_302600_NS11hip_rocprim26transform_input_iterator_tIS6_NSA_6detail15normal_iteratorINSA_10device_ptrIfEEEE22summary_stats_unary_opIfEEEPS6_S6_23summary_stats_binary_opIfEEE10hipError_tPvRmT1_T2_T3_mT4_P12ihipStream_tbEUlT_E1_NS1_11comp_targetILNS1_3genE2ELNS1_11target_archE906ELNS1_3gpuE6ELNS1_3repE0EEENS1_30default_config_static_selectorELNS0_4arch9wavefront6targetE0EEEvSR_,comdat
	.protected	_ZN7rocprim17ROCPRIM_400000_NS6detail17trampoline_kernelINS0_14default_configENS1_22reduce_config_selectorI18summary_stats_dataIfEEEZNS1_11reduce_implILb1ES3_N6thrust23THRUST_200600_302600_NS11hip_rocprim26transform_input_iterator_tIS6_NSA_6detail15normal_iteratorINSA_10device_ptrIfEEEE22summary_stats_unary_opIfEEEPS6_S6_23summary_stats_binary_opIfEEE10hipError_tPvRmT1_T2_T3_mT4_P12ihipStream_tbEUlT_E1_NS1_11comp_targetILNS1_3genE2ELNS1_11target_archE906ELNS1_3gpuE6ELNS1_3repE0EEENS1_30default_config_static_selectorELNS0_4arch9wavefront6targetE0EEEvSR_ ; -- Begin function _ZN7rocprim17ROCPRIM_400000_NS6detail17trampoline_kernelINS0_14default_configENS1_22reduce_config_selectorI18summary_stats_dataIfEEEZNS1_11reduce_implILb1ES3_N6thrust23THRUST_200600_302600_NS11hip_rocprim26transform_input_iterator_tIS6_NSA_6detail15normal_iteratorINSA_10device_ptrIfEEEE22summary_stats_unary_opIfEEEPS6_S6_23summary_stats_binary_opIfEEE10hipError_tPvRmT1_T2_T3_mT4_P12ihipStream_tbEUlT_E1_NS1_11comp_targetILNS1_3genE2ELNS1_11target_archE906ELNS1_3gpuE6ELNS1_3repE0EEENS1_30default_config_static_selectorELNS0_4arch9wavefront6targetE0EEEvSR_
	.globl	_ZN7rocprim17ROCPRIM_400000_NS6detail17trampoline_kernelINS0_14default_configENS1_22reduce_config_selectorI18summary_stats_dataIfEEEZNS1_11reduce_implILb1ES3_N6thrust23THRUST_200600_302600_NS11hip_rocprim26transform_input_iterator_tIS6_NSA_6detail15normal_iteratorINSA_10device_ptrIfEEEE22summary_stats_unary_opIfEEEPS6_S6_23summary_stats_binary_opIfEEE10hipError_tPvRmT1_T2_T3_mT4_P12ihipStream_tbEUlT_E1_NS1_11comp_targetILNS1_3genE2ELNS1_11target_archE906ELNS1_3gpuE6ELNS1_3repE0EEENS1_30default_config_static_selectorELNS0_4arch9wavefront6targetE0EEEvSR_
	.p2align	8
	.type	_ZN7rocprim17ROCPRIM_400000_NS6detail17trampoline_kernelINS0_14default_configENS1_22reduce_config_selectorI18summary_stats_dataIfEEEZNS1_11reduce_implILb1ES3_N6thrust23THRUST_200600_302600_NS11hip_rocprim26transform_input_iterator_tIS6_NSA_6detail15normal_iteratorINSA_10device_ptrIfEEEE22summary_stats_unary_opIfEEEPS6_S6_23summary_stats_binary_opIfEEE10hipError_tPvRmT1_T2_T3_mT4_P12ihipStream_tbEUlT_E1_NS1_11comp_targetILNS1_3genE2ELNS1_11target_archE906ELNS1_3gpuE6ELNS1_3repE0EEENS1_30default_config_static_selectorELNS0_4arch9wavefront6targetE0EEEvSR_,@function
_ZN7rocprim17ROCPRIM_400000_NS6detail17trampoline_kernelINS0_14default_configENS1_22reduce_config_selectorI18summary_stats_dataIfEEEZNS1_11reduce_implILb1ES3_N6thrust23THRUST_200600_302600_NS11hip_rocprim26transform_input_iterator_tIS6_NSA_6detail15normal_iteratorINSA_10device_ptrIfEEEE22summary_stats_unary_opIfEEEPS6_S6_23summary_stats_binary_opIfEEE10hipError_tPvRmT1_T2_T3_mT4_P12ihipStream_tbEUlT_E1_NS1_11comp_targetILNS1_3genE2ELNS1_11target_archE906ELNS1_3gpuE6ELNS1_3repE0EEENS1_30default_config_static_selectorELNS0_4arch9wavefront6targetE0EEEvSR_: ; @_ZN7rocprim17ROCPRIM_400000_NS6detail17trampoline_kernelINS0_14default_configENS1_22reduce_config_selectorI18summary_stats_dataIfEEEZNS1_11reduce_implILb1ES3_N6thrust23THRUST_200600_302600_NS11hip_rocprim26transform_input_iterator_tIS6_NSA_6detail15normal_iteratorINSA_10device_ptrIfEEEE22summary_stats_unary_opIfEEEPS6_S6_23summary_stats_binary_opIfEEE10hipError_tPvRmT1_T2_T3_mT4_P12ihipStream_tbEUlT_E1_NS1_11comp_targetILNS1_3genE2ELNS1_11target_archE906ELNS1_3gpuE6ELNS1_3repE0EEENS1_30default_config_static_selectorELNS0_4arch9wavefront6targetE0EEEvSR_
; %bb.0:
	.section	.rodata,"a",@progbits
	.p2align	6, 0x0
	.amdhsa_kernel _ZN7rocprim17ROCPRIM_400000_NS6detail17trampoline_kernelINS0_14default_configENS1_22reduce_config_selectorI18summary_stats_dataIfEEEZNS1_11reduce_implILb1ES3_N6thrust23THRUST_200600_302600_NS11hip_rocprim26transform_input_iterator_tIS6_NSA_6detail15normal_iteratorINSA_10device_ptrIfEEEE22summary_stats_unary_opIfEEEPS6_S6_23summary_stats_binary_opIfEEE10hipError_tPvRmT1_T2_T3_mT4_P12ihipStream_tbEUlT_E1_NS1_11comp_targetILNS1_3genE2ELNS1_11target_archE906ELNS1_3gpuE6ELNS1_3repE0EEENS1_30default_config_static_selectorELNS0_4arch9wavefront6targetE0EEEvSR_
		.amdhsa_group_segment_fixed_size 0
		.amdhsa_private_segment_fixed_size 0
		.amdhsa_kernarg_size 72
		.amdhsa_user_sgpr_count 15
		.amdhsa_user_sgpr_dispatch_ptr 0
		.amdhsa_user_sgpr_queue_ptr 0
		.amdhsa_user_sgpr_kernarg_segment_ptr 1
		.amdhsa_user_sgpr_dispatch_id 0
		.amdhsa_user_sgpr_private_segment_size 0
		.amdhsa_wavefront_size32 1
		.amdhsa_uses_dynamic_stack 0
		.amdhsa_enable_private_segment 0
		.amdhsa_system_sgpr_workgroup_id_x 1
		.amdhsa_system_sgpr_workgroup_id_y 0
		.amdhsa_system_sgpr_workgroup_id_z 0
		.amdhsa_system_sgpr_workgroup_info 0
		.amdhsa_system_vgpr_workitem_id 0
		.amdhsa_next_free_vgpr 1
		.amdhsa_next_free_sgpr 1
		.amdhsa_reserve_vcc 0
		.amdhsa_float_round_mode_32 0
		.amdhsa_float_round_mode_16_64 0
		.amdhsa_float_denorm_mode_32 3
		.amdhsa_float_denorm_mode_16_64 3
		.amdhsa_dx10_clamp 1
		.amdhsa_ieee_mode 1
		.amdhsa_fp16_overflow 0
		.amdhsa_workgroup_processor_mode 1
		.amdhsa_memory_ordered 1
		.amdhsa_forward_progress 0
		.amdhsa_shared_vgpr_count 0
		.amdhsa_exception_fp_ieee_invalid_op 0
		.amdhsa_exception_fp_denorm_src 0
		.amdhsa_exception_fp_ieee_div_zero 0
		.amdhsa_exception_fp_ieee_overflow 0
		.amdhsa_exception_fp_ieee_underflow 0
		.amdhsa_exception_fp_ieee_inexact 0
		.amdhsa_exception_int_div_zero 0
	.end_amdhsa_kernel
	.section	.text._ZN7rocprim17ROCPRIM_400000_NS6detail17trampoline_kernelINS0_14default_configENS1_22reduce_config_selectorI18summary_stats_dataIfEEEZNS1_11reduce_implILb1ES3_N6thrust23THRUST_200600_302600_NS11hip_rocprim26transform_input_iterator_tIS6_NSA_6detail15normal_iteratorINSA_10device_ptrIfEEEE22summary_stats_unary_opIfEEEPS6_S6_23summary_stats_binary_opIfEEE10hipError_tPvRmT1_T2_T3_mT4_P12ihipStream_tbEUlT_E1_NS1_11comp_targetILNS1_3genE2ELNS1_11target_archE906ELNS1_3gpuE6ELNS1_3repE0EEENS1_30default_config_static_selectorELNS0_4arch9wavefront6targetE0EEEvSR_,"axG",@progbits,_ZN7rocprim17ROCPRIM_400000_NS6detail17trampoline_kernelINS0_14default_configENS1_22reduce_config_selectorI18summary_stats_dataIfEEEZNS1_11reduce_implILb1ES3_N6thrust23THRUST_200600_302600_NS11hip_rocprim26transform_input_iterator_tIS6_NSA_6detail15normal_iteratorINSA_10device_ptrIfEEEE22summary_stats_unary_opIfEEEPS6_S6_23summary_stats_binary_opIfEEE10hipError_tPvRmT1_T2_T3_mT4_P12ihipStream_tbEUlT_E1_NS1_11comp_targetILNS1_3genE2ELNS1_11target_archE906ELNS1_3gpuE6ELNS1_3repE0EEENS1_30default_config_static_selectorELNS0_4arch9wavefront6targetE0EEEvSR_,comdat
.Lfunc_end31:
	.size	_ZN7rocprim17ROCPRIM_400000_NS6detail17trampoline_kernelINS0_14default_configENS1_22reduce_config_selectorI18summary_stats_dataIfEEEZNS1_11reduce_implILb1ES3_N6thrust23THRUST_200600_302600_NS11hip_rocprim26transform_input_iterator_tIS6_NSA_6detail15normal_iteratorINSA_10device_ptrIfEEEE22summary_stats_unary_opIfEEEPS6_S6_23summary_stats_binary_opIfEEE10hipError_tPvRmT1_T2_T3_mT4_P12ihipStream_tbEUlT_E1_NS1_11comp_targetILNS1_3genE2ELNS1_11target_archE906ELNS1_3gpuE6ELNS1_3repE0EEENS1_30default_config_static_selectorELNS0_4arch9wavefront6targetE0EEEvSR_, .Lfunc_end31-_ZN7rocprim17ROCPRIM_400000_NS6detail17trampoline_kernelINS0_14default_configENS1_22reduce_config_selectorI18summary_stats_dataIfEEEZNS1_11reduce_implILb1ES3_N6thrust23THRUST_200600_302600_NS11hip_rocprim26transform_input_iterator_tIS6_NSA_6detail15normal_iteratorINSA_10device_ptrIfEEEE22summary_stats_unary_opIfEEEPS6_S6_23summary_stats_binary_opIfEEE10hipError_tPvRmT1_T2_T3_mT4_P12ihipStream_tbEUlT_E1_NS1_11comp_targetILNS1_3genE2ELNS1_11target_archE906ELNS1_3gpuE6ELNS1_3repE0EEENS1_30default_config_static_selectorELNS0_4arch9wavefront6targetE0EEEvSR_
                                        ; -- End function
	.section	.AMDGPU.csdata,"",@progbits
; Kernel info:
; codeLenInByte = 0
; NumSgprs: 0
; NumVgprs: 0
; ScratchSize: 0
; MemoryBound: 0
; FloatMode: 240
; IeeeMode: 1
; LDSByteSize: 0 bytes/workgroup (compile time only)
; SGPRBlocks: 0
; VGPRBlocks: 0
; NumSGPRsForWavesPerEU: 1
; NumVGPRsForWavesPerEU: 1
; Occupancy: 16
; WaveLimiterHint : 0
; COMPUTE_PGM_RSRC2:SCRATCH_EN: 0
; COMPUTE_PGM_RSRC2:USER_SGPR: 15
; COMPUTE_PGM_RSRC2:TRAP_HANDLER: 0
; COMPUTE_PGM_RSRC2:TGID_X_EN: 1
; COMPUTE_PGM_RSRC2:TGID_Y_EN: 0
; COMPUTE_PGM_RSRC2:TGID_Z_EN: 0
; COMPUTE_PGM_RSRC2:TIDIG_COMP_CNT: 0
	.section	.text._ZN7rocprim17ROCPRIM_400000_NS6detail17trampoline_kernelINS0_14default_configENS1_22reduce_config_selectorI18summary_stats_dataIfEEEZNS1_11reduce_implILb1ES3_N6thrust23THRUST_200600_302600_NS11hip_rocprim26transform_input_iterator_tIS6_NSA_6detail15normal_iteratorINSA_10device_ptrIfEEEE22summary_stats_unary_opIfEEEPS6_S6_23summary_stats_binary_opIfEEE10hipError_tPvRmT1_T2_T3_mT4_P12ihipStream_tbEUlT_E1_NS1_11comp_targetILNS1_3genE10ELNS1_11target_archE1201ELNS1_3gpuE5ELNS1_3repE0EEENS1_30default_config_static_selectorELNS0_4arch9wavefront6targetE0EEEvSR_,"axG",@progbits,_ZN7rocprim17ROCPRIM_400000_NS6detail17trampoline_kernelINS0_14default_configENS1_22reduce_config_selectorI18summary_stats_dataIfEEEZNS1_11reduce_implILb1ES3_N6thrust23THRUST_200600_302600_NS11hip_rocprim26transform_input_iterator_tIS6_NSA_6detail15normal_iteratorINSA_10device_ptrIfEEEE22summary_stats_unary_opIfEEEPS6_S6_23summary_stats_binary_opIfEEE10hipError_tPvRmT1_T2_T3_mT4_P12ihipStream_tbEUlT_E1_NS1_11comp_targetILNS1_3genE10ELNS1_11target_archE1201ELNS1_3gpuE5ELNS1_3repE0EEENS1_30default_config_static_selectorELNS0_4arch9wavefront6targetE0EEEvSR_,comdat
	.protected	_ZN7rocprim17ROCPRIM_400000_NS6detail17trampoline_kernelINS0_14default_configENS1_22reduce_config_selectorI18summary_stats_dataIfEEEZNS1_11reduce_implILb1ES3_N6thrust23THRUST_200600_302600_NS11hip_rocprim26transform_input_iterator_tIS6_NSA_6detail15normal_iteratorINSA_10device_ptrIfEEEE22summary_stats_unary_opIfEEEPS6_S6_23summary_stats_binary_opIfEEE10hipError_tPvRmT1_T2_T3_mT4_P12ihipStream_tbEUlT_E1_NS1_11comp_targetILNS1_3genE10ELNS1_11target_archE1201ELNS1_3gpuE5ELNS1_3repE0EEENS1_30default_config_static_selectorELNS0_4arch9wavefront6targetE0EEEvSR_ ; -- Begin function _ZN7rocprim17ROCPRIM_400000_NS6detail17trampoline_kernelINS0_14default_configENS1_22reduce_config_selectorI18summary_stats_dataIfEEEZNS1_11reduce_implILb1ES3_N6thrust23THRUST_200600_302600_NS11hip_rocprim26transform_input_iterator_tIS6_NSA_6detail15normal_iteratorINSA_10device_ptrIfEEEE22summary_stats_unary_opIfEEEPS6_S6_23summary_stats_binary_opIfEEE10hipError_tPvRmT1_T2_T3_mT4_P12ihipStream_tbEUlT_E1_NS1_11comp_targetILNS1_3genE10ELNS1_11target_archE1201ELNS1_3gpuE5ELNS1_3repE0EEENS1_30default_config_static_selectorELNS0_4arch9wavefront6targetE0EEEvSR_
	.globl	_ZN7rocprim17ROCPRIM_400000_NS6detail17trampoline_kernelINS0_14default_configENS1_22reduce_config_selectorI18summary_stats_dataIfEEEZNS1_11reduce_implILb1ES3_N6thrust23THRUST_200600_302600_NS11hip_rocprim26transform_input_iterator_tIS6_NSA_6detail15normal_iteratorINSA_10device_ptrIfEEEE22summary_stats_unary_opIfEEEPS6_S6_23summary_stats_binary_opIfEEE10hipError_tPvRmT1_T2_T3_mT4_P12ihipStream_tbEUlT_E1_NS1_11comp_targetILNS1_3genE10ELNS1_11target_archE1201ELNS1_3gpuE5ELNS1_3repE0EEENS1_30default_config_static_selectorELNS0_4arch9wavefront6targetE0EEEvSR_
	.p2align	8
	.type	_ZN7rocprim17ROCPRIM_400000_NS6detail17trampoline_kernelINS0_14default_configENS1_22reduce_config_selectorI18summary_stats_dataIfEEEZNS1_11reduce_implILb1ES3_N6thrust23THRUST_200600_302600_NS11hip_rocprim26transform_input_iterator_tIS6_NSA_6detail15normal_iteratorINSA_10device_ptrIfEEEE22summary_stats_unary_opIfEEEPS6_S6_23summary_stats_binary_opIfEEE10hipError_tPvRmT1_T2_T3_mT4_P12ihipStream_tbEUlT_E1_NS1_11comp_targetILNS1_3genE10ELNS1_11target_archE1201ELNS1_3gpuE5ELNS1_3repE0EEENS1_30default_config_static_selectorELNS0_4arch9wavefront6targetE0EEEvSR_,@function
_ZN7rocprim17ROCPRIM_400000_NS6detail17trampoline_kernelINS0_14default_configENS1_22reduce_config_selectorI18summary_stats_dataIfEEEZNS1_11reduce_implILb1ES3_N6thrust23THRUST_200600_302600_NS11hip_rocprim26transform_input_iterator_tIS6_NSA_6detail15normal_iteratorINSA_10device_ptrIfEEEE22summary_stats_unary_opIfEEEPS6_S6_23summary_stats_binary_opIfEEE10hipError_tPvRmT1_T2_T3_mT4_P12ihipStream_tbEUlT_E1_NS1_11comp_targetILNS1_3genE10ELNS1_11target_archE1201ELNS1_3gpuE5ELNS1_3repE0EEENS1_30default_config_static_selectorELNS0_4arch9wavefront6targetE0EEEvSR_: ; @_ZN7rocprim17ROCPRIM_400000_NS6detail17trampoline_kernelINS0_14default_configENS1_22reduce_config_selectorI18summary_stats_dataIfEEEZNS1_11reduce_implILb1ES3_N6thrust23THRUST_200600_302600_NS11hip_rocprim26transform_input_iterator_tIS6_NSA_6detail15normal_iteratorINSA_10device_ptrIfEEEE22summary_stats_unary_opIfEEEPS6_S6_23summary_stats_binary_opIfEEE10hipError_tPvRmT1_T2_T3_mT4_P12ihipStream_tbEUlT_E1_NS1_11comp_targetILNS1_3genE10ELNS1_11target_archE1201ELNS1_3gpuE5ELNS1_3repE0EEENS1_30default_config_static_selectorELNS0_4arch9wavefront6targetE0EEEvSR_
; %bb.0:
	.section	.rodata,"a",@progbits
	.p2align	6, 0x0
	.amdhsa_kernel _ZN7rocprim17ROCPRIM_400000_NS6detail17trampoline_kernelINS0_14default_configENS1_22reduce_config_selectorI18summary_stats_dataIfEEEZNS1_11reduce_implILb1ES3_N6thrust23THRUST_200600_302600_NS11hip_rocprim26transform_input_iterator_tIS6_NSA_6detail15normal_iteratorINSA_10device_ptrIfEEEE22summary_stats_unary_opIfEEEPS6_S6_23summary_stats_binary_opIfEEE10hipError_tPvRmT1_T2_T3_mT4_P12ihipStream_tbEUlT_E1_NS1_11comp_targetILNS1_3genE10ELNS1_11target_archE1201ELNS1_3gpuE5ELNS1_3repE0EEENS1_30default_config_static_selectorELNS0_4arch9wavefront6targetE0EEEvSR_
		.amdhsa_group_segment_fixed_size 0
		.amdhsa_private_segment_fixed_size 0
		.amdhsa_kernarg_size 72
		.amdhsa_user_sgpr_count 15
		.amdhsa_user_sgpr_dispatch_ptr 0
		.amdhsa_user_sgpr_queue_ptr 0
		.amdhsa_user_sgpr_kernarg_segment_ptr 1
		.amdhsa_user_sgpr_dispatch_id 0
		.amdhsa_user_sgpr_private_segment_size 0
		.amdhsa_wavefront_size32 1
		.amdhsa_uses_dynamic_stack 0
		.amdhsa_enable_private_segment 0
		.amdhsa_system_sgpr_workgroup_id_x 1
		.amdhsa_system_sgpr_workgroup_id_y 0
		.amdhsa_system_sgpr_workgroup_id_z 0
		.amdhsa_system_sgpr_workgroup_info 0
		.amdhsa_system_vgpr_workitem_id 0
		.amdhsa_next_free_vgpr 1
		.amdhsa_next_free_sgpr 1
		.amdhsa_reserve_vcc 0
		.amdhsa_float_round_mode_32 0
		.amdhsa_float_round_mode_16_64 0
		.amdhsa_float_denorm_mode_32 3
		.amdhsa_float_denorm_mode_16_64 3
		.amdhsa_dx10_clamp 1
		.amdhsa_ieee_mode 1
		.amdhsa_fp16_overflow 0
		.amdhsa_workgroup_processor_mode 1
		.amdhsa_memory_ordered 1
		.amdhsa_forward_progress 0
		.amdhsa_shared_vgpr_count 0
		.amdhsa_exception_fp_ieee_invalid_op 0
		.amdhsa_exception_fp_denorm_src 0
		.amdhsa_exception_fp_ieee_div_zero 0
		.amdhsa_exception_fp_ieee_overflow 0
		.amdhsa_exception_fp_ieee_underflow 0
		.amdhsa_exception_fp_ieee_inexact 0
		.amdhsa_exception_int_div_zero 0
	.end_amdhsa_kernel
	.section	.text._ZN7rocprim17ROCPRIM_400000_NS6detail17trampoline_kernelINS0_14default_configENS1_22reduce_config_selectorI18summary_stats_dataIfEEEZNS1_11reduce_implILb1ES3_N6thrust23THRUST_200600_302600_NS11hip_rocprim26transform_input_iterator_tIS6_NSA_6detail15normal_iteratorINSA_10device_ptrIfEEEE22summary_stats_unary_opIfEEEPS6_S6_23summary_stats_binary_opIfEEE10hipError_tPvRmT1_T2_T3_mT4_P12ihipStream_tbEUlT_E1_NS1_11comp_targetILNS1_3genE10ELNS1_11target_archE1201ELNS1_3gpuE5ELNS1_3repE0EEENS1_30default_config_static_selectorELNS0_4arch9wavefront6targetE0EEEvSR_,"axG",@progbits,_ZN7rocprim17ROCPRIM_400000_NS6detail17trampoline_kernelINS0_14default_configENS1_22reduce_config_selectorI18summary_stats_dataIfEEEZNS1_11reduce_implILb1ES3_N6thrust23THRUST_200600_302600_NS11hip_rocprim26transform_input_iterator_tIS6_NSA_6detail15normal_iteratorINSA_10device_ptrIfEEEE22summary_stats_unary_opIfEEEPS6_S6_23summary_stats_binary_opIfEEE10hipError_tPvRmT1_T2_T3_mT4_P12ihipStream_tbEUlT_E1_NS1_11comp_targetILNS1_3genE10ELNS1_11target_archE1201ELNS1_3gpuE5ELNS1_3repE0EEENS1_30default_config_static_selectorELNS0_4arch9wavefront6targetE0EEEvSR_,comdat
.Lfunc_end32:
	.size	_ZN7rocprim17ROCPRIM_400000_NS6detail17trampoline_kernelINS0_14default_configENS1_22reduce_config_selectorI18summary_stats_dataIfEEEZNS1_11reduce_implILb1ES3_N6thrust23THRUST_200600_302600_NS11hip_rocprim26transform_input_iterator_tIS6_NSA_6detail15normal_iteratorINSA_10device_ptrIfEEEE22summary_stats_unary_opIfEEEPS6_S6_23summary_stats_binary_opIfEEE10hipError_tPvRmT1_T2_T3_mT4_P12ihipStream_tbEUlT_E1_NS1_11comp_targetILNS1_3genE10ELNS1_11target_archE1201ELNS1_3gpuE5ELNS1_3repE0EEENS1_30default_config_static_selectorELNS0_4arch9wavefront6targetE0EEEvSR_, .Lfunc_end32-_ZN7rocprim17ROCPRIM_400000_NS6detail17trampoline_kernelINS0_14default_configENS1_22reduce_config_selectorI18summary_stats_dataIfEEEZNS1_11reduce_implILb1ES3_N6thrust23THRUST_200600_302600_NS11hip_rocprim26transform_input_iterator_tIS6_NSA_6detail15normal_iteratorINSA_10device_ptrIfEEEE22summary_stats_unary_opIfEEEPS6_S6_23summary_stats_binary_opIfEEE10hipError_tPvRmT1_T2_T3_mT4_P12ihipStream_tbEUlT_E1_NS1_11comp_targetILNS1_3genE10ELNS1_11target_archE1201ELNS1_3gpuE5ELNS1_3repE0EEENS1_30default_config_static_selectorELNS0_4arch9wavefront6targetE0EEEvSR_
                                        ; -- End function
	.section	.AMDGPU.csdata,"",@progbits
; Kernel info:
; codeLenInByte = 0
; NumSgprs: 0
; NumVgprs: 0
; ScratchSize: 0
; MemoryBound: 0
; FloatMode: 240
; IeeeMode: 1
; LDSByteSize: 0 bytes/workgroup (compile time only)
; SGPRBlocks: 0
; VGPRBlocks: 0
; NumSGPRsForWavesPerEU: 1
; NumVGPRsForWavesPerEU: 1
; Occupancy: 16
; WaveLimiterHint : 0
; COMPUTE_PGM_RSRC2:SCRATCH_EN: 0
; COMPUTE_PGM_RSRC2:USER_SGPR: 15
; COMPUTE_PGM_RSRC2:TRAP_HANDLER: 0
; COMPUTE_PGM_RSRC2:TGID_X_EN: 1
; COMPUTE_PGM_RSRC2:TGID_Y_EN: 0
; COMPUTE_PGM_RSRC2:TGID_Z_EN: 0
; COMPUTE_PGM_RSRC2:TIDIG_COMP_CNT: 0
	.section	.text._ZN7rocprim17ROCPRIM_400000_NS6detail17trampoline_kernelINS0_14default_configENS1_22reduce_config_selectorI18summary_stats_dataIfEEEZNS1_11reduce_implILb1ES3_N6thrust23THRUST_200600_302600_NS11hip_rocprim26transform_input_iterator_tIS6_NSA_6detail15normal_iteratorINSA_10device_ptrIfEEEE22summary_stats_unary_opIfEEEPS6_S6_23summary_stats_binary_opIfEEE10hipError_tPvRmT1_T2_T3_mT4_P12ihipStream_tbEUlT_E1_NS1_11comp_targetILNS1_3genE10ELNS1_11target_archE1200ELNS1_3gpuE4ELNS1_3repE0EEENS1_30default_config_static_selectorELNS0_4arch9wavefront6targetE0EEEvSR_,"axG",@progbits,_ZN7rocprim17ROCPRIM_400000_NS6detail17trampoline_kernelINS0_14default_configENS1_22reduce_config_selectorI18summary_stats_dataIfEEEZNS1_11reduce_implILb1ES3_N6thrust23THRUST_200600_302600_NS11hip_rocprim26transform_input_iterator_tIS6_NSA_6detail15normal_iteratorINSA_10device_ptrIfEEEE22summary_stats_unary_opIfEEEPS6_S6_23summary_stats_binary_opIfEEE10hipError_tPvRmT1_T2_T3_mT4_P12ihipStream_tbEUlT_E1_NS1_11comp_targetILNS1_3genE10ELNS1_11target_archE1200ELNS1_3gpuE4ELNS1_3repE0EEENS1_30default_config_static_selectorELNS0_4arch9wavefront6targetE0EEEvSR_,comdat
	.protected	_ZN7rocprim17ROCPRIM_400000_NS6detail17trampoline_kernelINS0_14default_configENS1_22reduce_config_selectorI18summary_stats_dataIfEEEZNS1_11reduce_implILb1ES3_N6thrust23THRUST_200600_302600_NS11hip_rocprim26transform_input_iterator_tIS6_NSA_6detail15normal_iteratorINSA_10device_ptrIfEEEE22summary_stats_unary_opIfEEEPS6_S6_23summary_stats_binary_opIfEEE10hipError_tPvRmT1_T2_T3_mT4_P12ihipStream_tbEUlT_E1_NS1_11comp_targetILNS1_3genE10ELNS1_11target_archE1200ELNS1_3gpuE4ELNS1_3repE0EEENS1_30default_config_static_selectorELNS0_4arch9wavefront6targetE0EEEvSR_ ; -- Begin function _ZN7rocprim17ROCPRIM_400000_NS6detail17trampoline_kernelINS0_14default_configENS1_22reduce_config_selectorI18summary_stats_dataIfEEEZNS1_11reduce_implILb1ES3_N6thrust23THRUST_200600_302600_NS11hip_rocprim26transform_input_iterator_tIS6_NSA_6detail15normal_iteratorINSA_10device_ptrIfEEEE22summary_stats_unary_opIfEEEPS6_S6_23summary_stats_binary_opIfEEE10hipError_tPvRmT1_T2_T3_mT4_P12ihipStream_tbEUlT_E1_NS1_11comp_targetILNS1_3genE10ELNS1_11target_archE1200ELNS1_3gpuE4ELNS1_3repE0EEENS1_30default_config_static_selectorELNS0_4arch9wavefront6targetE0EEEvSR_
	.globl	_ZN7rocprim17ROCPRIM_400000_NS6detail17trampoline_kernelINS0_14default_configENS1_22reduce_config_selectorI18summary_stats_dataIfEEEZNS1_11reduce_implILb1ES3_N6thrust23THRUST_200600_302600_NS11hip_rocprim26transform_input_iterator_tIS6_NSA_6detail15normal_iteratorINSA_10device_ptrIfEEEE22summary_stats_unary_opIfEEEPS6_S6_23summary_stats_binary_opIfEEE10hipError_tPvRmT1_T2_T3_mT4_P12ihipStream_tbEUlT_E1_NS1_11comp_targetILNS1_3genE10ELNS1_11target_archE1200ELNS1_3gpuE4ELNS1_3repE0EEENS1_30default_config_static_selectorELNS0_4arch9wavefront6targetE0EEEvSR_
	.p2align	8
	.type	_ZN7rocprim17ROCPRIM_400000_NS6detail17trampoline_kernelINS0_14default_configENS1_22reduce_config_selectorI18summary_stats_dataIfEEEZNS1_11reduce_implILb1ES3_N6thrust23THRUST_200600_302600_NS11hip_rocprim26transform_input_iterator_tIS6_NSA_6detail15normal_iteratorINSA_10device_ptrIfEEEE22summary_stats_unary_opIfEEEPS6_S6_23summary_stats_binary_opIfEEE10hipError_tPvRmT1_T2_T3_mT4_P12ihipStream_tbEUlT_E1_NS1_11comp_targetILNS1_3genE10ELNS1_11target_archE1200ELNS1_3gpuE4ELNS1_3repE0EEENS1_30default_config_static_selectorELNS0_4arch9wavefront6targetE0EEEvSR_,@function
_ZN7rocprim17ROCPRIM_400000_NS6detail17trampoline_kernelINS0_14default_configENS1_22reduce_config_selectorI18summary_stats_dataIfEEEZNS1_11reduce_implILb1ES3_N6thrust23THRUST_200600_302600_NS11hip_rocprim26transform_input_iterator_tIS6_NSA_6detail15normal_iteratorINSA_10device_ptrIfEEEE22summary_stats_unary_opIfEEEPS6_S6_23summary_stats_binary_opIfEEE10hipError_tPvRmT1_T2_T3_mT4_P12ihipStream_tbEUlT_E1_NS1_11comp_targetILNS1_3genE10ELNS1_11target_archE1200ELNS1_3gpuE4ELNS1_3repE0EEENS1_30default_config_static_selectorELNS0_4arch9wavefront6targetE0EEEvSR_: ; @_ZN7rocprim17ROCPRIM_400000_NS6detail17trampoline_kernelINS0_14default_configENS1_22reduce_config_selectorI18summary_stats_dataIfEEEZNS1_11reduce_implILb1ES3_N6thrust23THRUST_200600_302600_NS11hip_rocprim26transform_input_iterator_tIS6_NSA_6detail15normal_iteratorINSA_10device_ptrIfEEEE22summary_stats_unary_opIfEEEPS6_S6_23summary_stats_binary_opIfEEE10hipError_tPvRmT1_T2_T3_mT4_P12ihipStream_tbEUlT_E1_NS1_11comp_targetILNS1_3genE10ELNS1_11target_archE1200ELNS1_3gpuE4ELNS1_3repE0EEENS1_30default_config_static_selectorELNS0_4arch9wavefront6targetE0EEEvSR_
; %bb.0:
	.section	.rodata,"a",@progbits
	.p2align	6, 0x0
	.amdhsa_kernel _ZN7rocprim17ROCPRIM_400000_NS6detail17trampoline_kernelINS0_14default_configENS1_22reduce_config_selectorI18summary_stats_dataIfEEEZNS1_11reduce_implILb1ES3_N6thrust23THRUST_200600_302600_NS11hip_rocprim26transform_input_iterator_tIS6_NSA_6detail15normal_iteratorINSA_10device_ptrIfEEEE22summary_stats_unary_opIfEEEPS6_S6_23summary_stats_binary_opIfEEE10hipError_tPvRmT1_T2_T3_mT4_P12ihipStream_tbEUlT_E1_NS1_11comp_targetILNS1_3genE10ELNS1_11target_archE1200ELNS1_3gpuE4ELNS1_3repE0EEENS1_30default_config_static_selectorELNS0_4arch9wavefront6targetE0EEEvSR_
		.amdhsa_group_segment_fixed_size 0
		.amdhsa_private_segment_fixed_size 0
		.amdhsa_kernarg_size 72
		.amdhsa_user_sgpr_count 15
		.amdhsa_user_sgpr_dispatch_ptr 0
		.amdhsa_user_sgpr_queue_ptr 0
		.amdhsa_user_sgpr_kernarg_segment_ptr 1
		.amdhsa_user_sgpr_dispatch_id 0
		.amdhsa_user_sgpr_private_segment_size 0
		.amdhsa_wavefront_size32 1
		.amdhsa_uses_dynamic_stack 0
		.amdhsa_enable_private_segment 0
		.amdhsa_system_sgpr_workgroup_id_x 1
		.amdhsa_system_sgpr_workgroup_id_y 0
		.amdhsa_system_sgpr_workgroup_id_z 0
		.amdhsa_system_sgpr_workgroup_info 0
		.amdhsa_system_vgpr_workitem_id 0
		.amdhsa_next_free_vgpr 1
		.amdhsa_next_free_sgpr 1
		.amdhsa_reserve_vcc 0
		.amdhsa_float_round_mode_32 0
		.amdhsa_float_round_mode_16_64 0
		.amdhsa_float_denorm_mode_32 3
		.amdhsa_float_denorm_mode_16_64 3
		.amdhsa_dx10_clamp 1
		.amdhsa_ieee_mode 1
		.amdhsa_fp16_overflow 0
		.amdhsa_workgroup_processor_mode 1
		.amdhsa_memory_ordered 1
		.amdhsa_forward_progress 0
		.amdhsa_shared_vgpr_count 0
		.amdhsa_exception_fp_ieee_invalid_op 0
		.amdhsa_exception_fp_denorm_src 0
		.amdhsa_exception_fp_ieee_div_zero 0
		.amdhsa_exception_fp_ieee_overflow 0
		.amdhsa_exception_fp_ieee_underflow 0
		.amdhsa_exception_fp_ieee_inexact 0
		.amdhsa_exception_int_div_zero 0
	.end_amdhsa_kernel
	.section	.text._ZN7rocprim17ROCPRIM_400000_NS6detail17trampoline_kernelINS0_14default_configENS1_22reduce_config_selectorI18summary_stats_dataIfEEEZNS1_11reduce_implILb1ES3_N6thrust23THRUST_200600_302600_NS11hip_rocprim26transform_input_iterator_tIS6_NSA_6detail15normal_iteratorINSA_10device_ptrIfEEEE22summary_stats_unary_opIfEEEPS6_S6_23summary_stats_binary_opIfEEE10hipError_tPvRmT1_T2_T3_mT4_P12ihipStream_tbEUlT_E1_NS1_11comp_targetILNS1_3genE10ELNS1_11target_archE1200ELNS1_3gpuE4ELNS1_3repE0EEENS1_30default_config_static_selectorELNS0_4arch9wavefront6targetE0EEEvSR_,"axG",@progbits,_ZN7rocprim17ROCPRIM_400000_NS6detail17trampoline_kernelINS0_14default_configENS1_22reduce_config_selectorI18summary_stats_dataIfEEEZNS1_11reduce_implILb1ES3_N6thrust23THRUST_200600_302600_NS11hip_rocprim26transform_input_iterator_tIS6_NSA_6detail15normal_iteratorINSA_10device_ptrIfEEEE22summary_stats_unary_opIfEEEPS6_S6_23summary_stats_binary_opIfEEE10hipError_tPvRmT1_T2_T3_mT4_P12ihipStream_tbEUlT_E1_NS1_11comp_targetILNS1_3genE10ELNS1_11target_archE1200ELNS1_3gpuE4ELNS1_3repE0EEENS1_30default_config_static_selectorELNS0_4arch9wavefront6targetE0EEEvSR_,comdat
.Lfunc_end33:
	.size	_ZN7rocprim17ROCPRIM_400000_NS6detail17trampoline_kernelINS0_14default_configENS1_22reduce_config_selectorI18summary_stats_dataIfEEEZNS1_11reduce_implILb1ES3_N6thrust23THRUST_200600_302600_NS11hip_rocprim26transform_input_iterator_tIS6_NSA_6detail15normal_iteratorINSA_10device_ptrIfEEEE22summary_stats_unary_opIfEEEPS6_S6_23summary_stats_binary_opIfEEE10hipError_tPvRmT1_T2_T3_mT4_P12ihipStream_tbEUlT_E1_NS1_11comp_targetILNS1_3genE10ELNS1_11target_archE1200ELNS1_3gpuE4ELNS1_3repE0EEENS1_30default_config_static_selectorELNS0_4arch9wavefront6targetE0EEEvSR_, .Lfunc_end33-_ZN7rocprim17ROCPRIM_400000_NS6detail17trampoline_kernelINS0_14default_configENS1_22reduce_config_selectorI18summary_stats_dataIfEEEZNS1_11reduce_implILb1ES3_N6thrust23THRUST_200600_302600_NS11hip_rocprim26transform_input_iterator_tIS6_NSA_6detail15normal_iteratorINSA_10device_ptrIfEEEE22summary_stats_unary_opIfEEEPS6_S6_23summary_stats_binary_opIfEEE10hipError_tPvRmT1_T2_T3_mT4_P12ihipStream_tbEUlT_E1_NS1_11comp_targetILNS1_3genE10ELNS1_11target_archE1200ELNS1_3gpuE4ELNS1_3repE0EEENS1_30default_config_static_selectorELNS0_4arch9wavefront6targetE0EEEvSR_
                                        ; -- End function
	.section	.AMDGPU.csdata,"",@progbits
; Kernel info:
; codeLenInByte = 0
; NumSgprs: 0
; NumVgprs: 0
; ScratchSize: 0
; MemoryBound: 0
; FloatMode: 240
; IeeeMode: 1
; LDSByteSize: 0 bytes/workgroup (compile time only)
; SGPRBlocks: 0
; VGPRBlocks: 0
; NumSGPRsForWavesPerEU: 1
; NumVGPRsForWavesPerEU: 1
; Occupancy: 16
; WaveLimiterHint : 0
; COMPUTE_PGM_RSRC2:SCRATCH_EN: 0
; COMPUTE_PGM_RSRC2:USER_SGPR: 15
; COMPUTE_PGM_RSRC2:TRAP_HANDLER: 0
; COMPUTE_PGM_RSRC2:TGID_X_EN: 1
; COMPUTE_PGM_RSRC2:TGID_Y_EN: 0
; COMPUTE_PGM_RSRC2:TGID_Z_EN: 0
; COMPUTE_PGM_RSRC2:TIDIG_COMP_CNT: 0
	.section	.text._ZN7rocprim17ROCPRIM_400000_NS6detail17trampoline_kernelINS0_14default_configENS1_22reduce_config_selectorI18summary_stats_dataIfEEEZNS1_11reduce_implILb1ES3_N6thrust23THRUST_200600_302600_NS11hip_rocprim26transform_input_iterator_tIS6_NSA_6detail15normal_iteratorINSA_10device_ptrIfEEEE22summary_stats_unary_opIfEEEPS6_S6_23summary_stats_binary_opIfEEE10hipError_tPvRmT1_T2_T3_mT4_P12ihipStream_tbEUlT_E1_NS1_11comp_targetILNS1_3genE9ELNS1_11target_archE1100ELNS1_3gpuE3ELNS1_3repE0EEENS1_30default_config_static_selectorELNS0_4arch9wavefront6targetE0EEEvSR_,"axG",@progbits,_ZN7rocprim17ROCPRIM_400000_NS6detail17trampoline_kernelINS0_14default_configENS1_22reduce_config_selectorI18summary_stats_dataIfEEEZNS1_11reduce_implILb1ES3_N6thrust23THRUST_200600_302600_NS11hip_rocprim26transform_input_iterator_tIS6_NSA_6detail15normal_iteratorINSA_10device_ptrIfEEEE22summary_stats_unary_opIfEEEPS6_S6_23summary_stats_binary_opIfEEE10hipError_tPvRmT1_T2_T3_mT4_P12ihipStream_tbEUlT_E1_NS1_11comp_targetILNS1_3genE9ELNS1_11target_archE1100ELNS1_3gpuE3ELNS1_3repE0EEENS1_30default_config_static_selectorELNS0_4arch9wavefront6targetE0EEEvSR_,comdat
	.protected	_ZN7rocprim17ROCPRIM_400000_NS6detail17trampoline_kernelINS0_14default_configENS1_22reduce_config_selectorI18summary_stats_dataIfEEEZNS1_11reduce_implILb1ES3_N6thrust23THRUST_200600_302600_NS11hip_rocprim26transform_input_iterator_tIS6_NSA_6detail15normal_iteratorINSA_10device_ptrIfEEEE22summary_stats_unary_opIfEEEPS6_S6_23summary_stats_binary_opIfEEE10hipError_tPvRmT1_T2_T3_mT4_P12ihipStream_tbEUlT_E1_NS1_11comp_targetILNS1_3genE9ELNS1_11target_archE1100ELNS1_3gpuE3ELNS1_3repE0EEENS1_30default_config_static_selectorELNS0_4arch9wavefront6targetE0EEEvSR_ ; -- Begin function _ZN7rocprim17ROCPRIM_400000_NS6detail17trampoline_kernelINS0_14default_configENS1_22reduce_config_selectorI18summary_stats_dataIfEEEZNS1_11reduce_implILb1ES3_N6thrust23THRUST_200600_302600_NS11hip_rocprim26transform_input_iterator_tIS6_NSA_6detail15normal_iteratorINSA_10device_ptrIfEEEE22summary_stats_unary_opIfEEEPS6_S6_23summary_stats_binary_opIfEEE10hipError_tPvRmT1_T2_T3_mT4_P12ihipStream_tbEUlT_E1_NS1_11comp_targetILNS1_3genE9ELNS1_11target_archE1100ELNS1_3gpuE3ELNS1_3repE0EEENS1_30default_config_static_selectorELNS0_4arch9wavefront6targetE0EEEvSR_
	.globl	_ZN7rocprim17ROCPRIM_400000_NS6detail17trampoline_kernelINS0_14default_configENS1_22reduce_config_selectorI18summary_stats_dataIfEEEZNS1_11reduce_implILb1ES3_N6thrust23THRUST_200600_302600_NS11hip_rocprim26transform_input_iterator_tIS6_NSA_6detail15normal_iteratorINSA_10device_ptrIfEEEE22summary_stats_unary_opIfEEEPS6_S6_23summary_stats_binary_opIfEEE10hipError_tPvRmT1_T2_T3_mT4_P12ihipStream_tbEUlT_E1_NS1_11comp_targetILNS1_3genE9ELNS1_11target_archE1100ELNS1_3gpuE3ELNS1_3repE0EEENS1_30default_config_static_selectorELNS0_4arch9wavefront6targetE0EEEvSR_
	.p2align	8
	.type	_ZN7rocprim17ROCPRIM_400000_NS6detail17trampoline_kernelINS0_14default_configENS1_22reduce_config_selectorI18summary_stats_dataIfEEEZNS1_11reduce_implILb1ES3_N6thrust23THRUST_200600_302600_NS11hip_rocprim26transform_input_iterator_tIS6_NSA_6detail15normal_iteratorINSA_10device_ptrIfEEEE22summary_stats_unary_opIfEEEPS6_S6_23summary_stats_binary_opIfEEE10hipError_tPvRmT1_T2_T3_mT4_P12ihipStream_tbEUlT_E1_NS1_11comp_targetILNS1_3genE9ELNS1_11target_archE1100ELNS1_3gpuE3ELNS1_3repE0EEENS1_30default_config_static_selectorELNS0_4arch9wavefront6targetE0EEEvSR_,@function
_ZN7rocprim17ROCPRIM_400000_NS6detail17trampoline_kernelINS0_14default_configENS1_22reduce_config_selectorI18summary_stats_dataIfEEEZNS1_11reduce_implILb1ES3_N6thrust23THRUST_200600_302600_NS11hip_rocprim26transform_input_iterator_tIS6_NSA_6detail15normal_iteratorINSA_10device_ptrIfEEEE22summary_stats_unary_opIfEEEPS6_S6_23summary_stats_binary_opIfEEE10hipError_tPvRmT1_T2_T3_mT4_P12ihipStream_tbEUlT_E1_NS1_11comp_targetILNS1_3genE9ELNS1_11target_archE1100ELNS1_3gpuE3ELNS1_3repE0EEENS1_30default_config_static_selectorELNS0_4arch9wavefront6targetE0EEEvSR_: ; @_ZN7rocprim17ROCPRIM_400000_NS6detail17trampoline_kernelINS0_14default_configENS1_22reduce_config_selectorI18summary_stats_dataIfEEEZNS1_11reduce_implILb1ES3_N6thrust23THRUST_200600_302600_NS11hip_rocprim26transform_input_iterator_tIS6_NSA_6detail15normal_iteratorINSA_10device_ptrIfEEEE22summary_stats_unary_opIfEEEPS6_S6_23summary_stats_binary_opIfEEE10hipError_tPvRmT1_T2_T3_mT4_P12ihipStream_tbEUlT_E1_NS1_11comp_targetILNS1_3genE9ELNS1_11target_archE1100ELNS1_3gpuE3ELNS1_3repE0EEENS1_30default_config_static_selectorELNS0_4arch9wavefront6targetE0EEEvSR_
; %bb.0:
	s_mov_b32 s20, s15
	s_clause 0x3
	s_load_b32 s28, s[0:1], 0x4
	s_load_b64 s[22:23], s[0:1], 0x8
	s_load_b256 s[8:15], s[0:1], 0x18
	s_load_b128 s[16:19], s[0:1], 0x38
	s_waitcnt lgkmcnt(0)
	s_cmp_lt_i32 s28, 2
	s_cbranch_scc1 .LBB34_9
; %bb.1:
	s_cmp_gt_i32 s28, 3
	s_cbranch_scc0 .LBB34_10
; %bb.2:
	s_cmp_eq_u32 s28, 4
	s_mov_b32 s7, 0
	s_cbranch_scc0 .LBB34_11
; %bb.3:
	s_mov_b32 s21, 0
	s_lshl_b32 s26, s20, 10
	s_mov_b32 s27, s21
	s_lshr_b64 s[2:3], s[8:9], 10
	s_lshl_b64 s[0:1], s[26:27], 2
	s_delay_alu instid0(SALU_CYCLE_1)
	s_add_u32 s24, s22, s0
	s_addc_u32 s25, s23, s1
	s_cmp_lg_u64 s[2:3], s[20:21]
	s_cbranch_scc0 .LBB34_20
; %bb.4:
	v_lshlrev_b32_e32 v1, 2, v0
	s_clause 0x3
	global_load_b32 v6, v1, s[24:25]
	global_load_b32 v12, v1, s[24:25] offset:1024
	global_load_b32 v10, v1, s[24:25] offset:2048
	;; [unrolled: 1-line block ×3, first 2 shown]
	v_mov_b32_e32 v1, 4.0
	s_delay_alu instid0(VALU_DEP_1) | instskip(NEXT) | instid1(VALU_DEP_1)
	v_mov_b32_dpp v9, v1 quad_perm:[1,0,3,2] row_mask:0xf bank_mask:0xf
	v_add_f32_e32 v3, 4.0, v9
	v_add_f32_e32 v30, -4.0, v9
	s_delay_alu instid0(VALU_DEP_2) | instskip(NEXT) | instid1(VALU_DEP_1)
	v_mov_b32_dpp v11, v3 quad_perm:[2,3,0,1] row_mask:0xf bank_mask:0xf
	v_add_f32_e32 v7, v3, v11
	s_delay_alu instid0(VALU_DEP_1) | instskip(NEXT) | instid1(VALU_DEP_1)
	v_mov_b32_dpp v14, v7 row_ror:4 row_mask:0xf bank_mask:0xf
	v_mul_f32_e32 v28, v14, v14
	v_add_f32_e32 v4, v7, v14
	v_dual_mul_f32 v16, v7, v7 :: v_dual_mul_f32 v21, v9, v9
	v_sub_f32_e32 v32, v11, v3
	s_delay_alu instid0(VALU_DEP_4) | instskip(NEXT) | instid1(VALU_DEP_4)
	v_fma_f32 v33, -v7, v14, v28
	v_mov_b32_dpp v13, v4 row_ror:8 row_mask:0xf bank_mask:0xf
	v_mul_f32_e32 v23, v11, v11
	v_fma_f32 v2, -4.0, v9, v21
	v_dual_mul_f32 v25, v3, v3 :: v_dual_mul_f32 v24, v4, v4
	s_delay_alu instid0(VALU_DEP_4) | instskip(NEXT) | instid1(VALU_DEP_4)
	v_dual_fmac_f32 v33, v7, v7 :: v_dual_mul_f32 v18, v13, v13
	v_fma_f32 v20, -v3, v11, v23
	s_delay_alu instid0(VALU_DEP_4) | instskip(SKIP_1) | instid1(VALU_DEP_4)
	v_dual_add_f32 v31, 0x41800000, v2 :: v_dual_add_f32 v2, v4, v13
	v_sub_f32_e32 v22, v13, v4
	v_fma_f32 v19, -v4, v13, v18
	v_mul_f32_e32 v27, v4, v24
	v_dual_mov_b32 v1, 0 :: v_dual_mul_f32 v26, v3, v25
	v_mul_f32_e32 v8, v2, v2
	v_fmac_f32_e32 v20, v3, v3
	v_dual_mul_f32 v29, v7, v16 :: v_dual_sub_f32 v34, v14, v7
	s_waitcnt vmcnt(2)
	v_cmp_lt_f32_e32 vcc_lo, v12, v6
	v_sub_f32_e32 v17, v12, v6
	v_mul_f32_e32 v15, v2, v8
	v_fmac_f32_e32 v19, v4, v4
	s_delay_alu instid0(VALU_DEP_3) | instskip(SKIP_2) | instid1(VALU_DEP_3)
	v_dual_cndmask_b32 v35, v6, v12 :: v_dual_mul_f32 v38, 4.0, v17
	v_cmp_lt_f32_e32 vcc_lo, v6, v12
	v_mul_f32_e32 v36, v17, v17
	v_dual_mul_f32 v37, 0x40400000, v17 :: v_dual_mul_f32 v38, 0, v38
	v_cndmask_b32_e32 v12, v6, v12, vcc_lo
	s_waitcnt vmcnt(1)
	v_cmp_lt_f32_e32 vcc_lo, v10, v35
	v_fmac_f32_e32 v6, 0.5, v17
	v_mul_f32_e32 v40, 0.5, v36
	v_mul_f32_e32 v41, 0x40c00000, v36
	v_mul_f32_e32 v37, 0, v37
	v_cndmask_b32_e32 v35, v35, v10, vcc_lo
	v_cmp_lt_f32_e32 vcc_lo, v12, v10
	v_dual_mul_f32 v39, v17, v36 :: v_dual_sub_f32 v42, v10, v6
	v_cndmask_b32_e32 v12, v12, v10, vcc_lo
	s_waitcnt vmcnt(0)
	v_cmp_lt_f32_e32 vcc_lo, v5, v35
	s_delay_alu instid0(VALU_DEP_3)
	v_mul_f32_e32 v46, 0x40400000, v42
	v_fma_f32 v10, v36, -0.5, 0
	v_div_scale_f32 v44, null, 0x40400000, 0x40400000, v42
	v_cndmask_b32_e32 v35, v35, v5, vcc_lo
	v_cmp_lt_f32_e32 vcc_lo, v12, v5
	v_mul_f32_e32 v17, v17, v39
	v_mul_f32_e32 v39, 0, v39
	v_rcp_f32_e32 v51, v44
	v_mov_b32_dpp v48, v35 quad_perm:[1,0,3,2] row_mask:0xf bank_mask:0xf
	v_cndmask_b32_e32 v12, v12, v5, vcc_lo
	v_dual_fmamk_f32 v50, v17, 0x3e000000, v1 :: v_dual_mul_f32 v43, v42, v42
	v_mul_f32_e32 v41, 0, v41
	s_delay_alu instid0(VALU_DEP_4) | instskip(NEXT) | instid1(VALU_DEP_4)
	v_cmp_lt_f32_e64 s0, v35, v48
	v_mov_b32_dpp v49, v12 quad_perm:[1,0,3,2] row_mask:0xf bank_mask:0xf
	v_fma_f32 v39, 0x3e800000, v39, 0
	v_add_f32_e32 v52, v43, v43
	v_mul_f32_e32 v46, v10, v46
	v_cndmask_b32_e64 v35, v48, v35, s0
	v_cmp_gt_f32_e64 s0, v12, v49
	v_fmac_f32_e32 v39, 0.5, v37
	v_dual_fmac_f32 v50, 0x3e800000, v41 :: v_dual_mul_f32 v47, 4.0, v42
	v_mul_f32_e32 v10, 0x40c00000, v43
	v_mul_f32_e32 v17, v42, v43
	v_cndmask_b32_e64 v12, v49, v12, s0
	s_delay_alu instid0(VALU_DEP_4) | instskip(SKIP_4) | instid1(VALU_DEP_4)
	v_fmac_f32_e32 v50, 0.5, v38
	v_fma_f32 v38, -v44, v51, 1.0
	v_mul_f32_e32 v40, v40, v10
	v_mov_b32_dpp v10, v35 quad_perm:[2,3,0,1] row_mask:0xf bank_mask:0xf
	v_mul_f32_e32 v37, v42, v17
	v_dual_add_f32 v48, v17, v17 :: v_dual_fmac_f32 v51, v38, v51
	v_mov_b32_dpp v17, v12 quad_perm:[2,3,0,1] row_mask:0xf bank_mask:0xf
	s_delay_alu instid0(VALU_DEP_4) | instskip(SKIP_2) | instid1(VALU_DEP_3)
	v_cmp_lt_f32_e64 s4, v35, v10
	v_div_scale_f32 v41, null, 0x40400000, 0x40400000, v52
	v_div_scale_f32 v49, null, 0x40400000, 0x40400000, v46
	v_cndmask_b32_e64 v10, v10, v35, s4
	v_cmp_gt_f32_e64 s4, v12, v17
	s_delay_alu instid0(VALU_DEP_4) | instskip(SKIP_2) | instid1(VALU_DEP_2)
	v_rcp_f32_e32 v54, v41
	v_div_scale_f32 v55, null, 0x41100000, 0x41100000, v48
	v_rcp_f32_e32 v57, v49
	v_cndmask_b32_e64 v12, v17, v12, s4
	v_mov_b32_dpp v17, v10 row_ror:4 row_mask:0xf bank_mask:0xf
	s_delay_alu instid0(VALU_DEP_3) | instskip(SKIP_1) | instid1(VALU_DEP_3)
	v_rcp_f32_e32 v35, v55
	v_div_scale_f32 v53, s1, v46, 0x40400000, v46
	v_mov_b32_dpp v62, v12 row_ror:4 row_mask:0xf bank_mask:0xf
	s_delay_alu instid0(VALU_DEP_3) | instskip(NEXT) | instid1(TRANS32_DEP_3)
	v_cmp_lt_f32_e64 s6, v10, v17
	v_fma_f32 v64, -v41, v54, 1.0
	v_add_f32_e32 v37, v37, v37
	s_delay_alu instid0(TRANS32_DEP_2) | instskip(SKIP_1) | instid1(VALU_DEP_4)
	v_fma_f32 v65, -v49, v57, 1.0
	v_div_scale_f32 v56, s2, v48, 0x41100000, v48
	v_fmac_f32_e32 v54, v64, v54
	v_cndmask_b32_e64 v10, v17, v10, s6
	v_cmp_gt_f32_e64 s6, v12, v62
	v_fma_f32 v64, -v55, v35, 1.0
	v_div_scale_f32 v45, vcc_lo, v42, 0x40400000, v42
	s_delay_alu instid0(VALU_DEP_4) | instskip(NEXT) | instid1(VALU_DEP_4)
	v_mov_b32_dpp v70, v10 row_ror:8 row_mask:0xf bank_mask:0xf
	v_cndmask_b32_e64 v12, v62, v12, s6
	s_delay_alu instid0(VALU_DEP_4) | instskip(SKIP_4) | instid1(VALU_DEP_3)
	v_fmac_f32_e32 v35, v64, v35
	v_fmac_f32_e32 v57, v65, v57
	v_div_scale_f32 v58, null, 0x41100000, 0x41100000, v40
	v_cmp_lt_f32_e64 s6, v10, v70
	v_div_scale_f32 v43, s0, v52, 0x40400000, v52
	v_rcp_f32_e32 v38, v58
	v_mul_f32_e64 v47, v47, -v39
	s_delay_alu instid0(VALU_DEP_3)
	v_cndmask_b32_e64 v10, v70, v10, s6
	v_mul_f32_e32 v70, v56, v35
	v_mul_f32_e32 v64, v53, v57
	;; [unrolled: 1-line block ×3, first 2 shown]
	v_div_scale_f32 v60, null, 0x40400000, 0x40400000, v47
	v_div_scale_f32 v59, s3, v40, 0x41100000, v40
	s_delay_alu instid0(VALU_DEP_4)
	v_fma_f32 v71, -v49, v64, v53
	v_mul_f32_e32 v63, v45, v51
	v_fma_f32 v69, -v58, v38, 1.0
	v_rcp_f32_e32 v68, v60
	v_div_scale_f32 v61, s4, v47, 0x40400000, v47
	v_fmac_f32_e32 v64, v71, v57
	v_fma_f32 v62, -v44, v63, v45
	v_fmac_f32_e32 v38, v69, v38
	v_mov_b32_dpp v17, v12 row_ror:8 row_mask:0xf bank_mask:0xf
	s_delay_alu instid0(VALU_DEP_3) | instskip(SKIP_1) | instid1(TRANS32_DEP_1)
	v_dual_fmac_f32 v63, v62, v51 :: v_dual_mul_f32 v62, v43, v54
	v_div_scale_f32 v66, null, 0x41d80000, 0x41d80000, v37
	v_fma_f32 v69, -v60, v68, 1.0
	s_delay_alu instid0(VALU_DEP_3) | instskip(NEXT) | instid1(VALU_DEP_4)
	v_fma_f32 v44, -v44, v63, v45
	v_fma_f32 v45, -v41, v62, v43
	s_delay_alu instid0(VALU_DEP_4) | instskip(SKIP_4) | instid1(VALU_DEP_2)
	v_rcp_f32_e32 v65, v66
	v_div_scale_f32 v67, s5, v37, 0x41d80000, v37
	v_dual_mul_f32 v73, v59, v38 :: v_dual_fmac_f32 v68, v69, v68
	v_div_fmas_f32 v44, v44, v51, v63
	s_mov_b32 vcc_lo, s0
	v_fma_f32 v51, -v58, v73, v59
	s_waitcnt_depctr 0xfff
	v_fma_f32 v72, -v66, v65, 1.0
	v_fmac_f32_e32 v62, v45, v54
	v_fma_f32 v45, -v55, v70, v56
	v_div_fixup_f32 v42, v44, 0x40400000, v42
	v_fmac_f32_e32 v73, v51, v38
	v_fmac_f32_e32 v65, v72, v65
	v_mul_f32_e32 v63, v61, v68
	v_fma_f32 v41, -v41, v62, v43
	v_fmac_f32_e32 v70, v45, v35
	v_fma_f32 v43, -v49, v64, v53
	v_mul_f32_e32 v44, v67, v65
	v_fma_f32 v45, -v60, v63, v61
	v_add_f32_e32 v6, v6, v42
	v_div_fmas_f32 v41, v41, v54, v62
	v_fma_f32 v42, -v55, v70, v56
	v_fma_f32 v49, -v66, v44, v67
	v_fmac_f32_e32 v63, v45, v68
	s_mov_b32 vcc_lo, s2
	v_div_fixup_f32 v41, v41, 0x40400000, v52
	v_div_fmas_f32 v35, v42, v35, v70
	v_fmac_f32_e32 v44, v49, v65
	v_sub_f32_e32 v5, v5, v6
	s_mov_b32 vcc_lo, s1
	v_fmac_f32_e32 v41, 0.5, v36
	v_div_fmas_f32 v43, v43, v57, v64
	v_div_fixup_f32 v35, v35, 0x41100000, v48
	v_fma_f32 v36, -v66, v44, v67
	v_mul_f32_e32 v45, v5, v5
	s_mov_b32 vcc_lo, s5
	v_div_fixup_f32 v43, v43, 0x40400000, v46
	v_add_f32_e32 v35, v39, v35
	v_div_fmas_f32 v36, v36, v65, v44
	v_mul_f32_e32 v44, 0x40400000, v45
	v_fmac_f32_e32 v6, 0x3e800000, v5
	s_delay_alu instid0(VALU_DEP_4) | instskip(SKIP_3) | instid1(VALU_DEP_3)
	v_dual_mul_f32 v48, 0x40400000, v5 :: v_dual_add_f32 v35, v43, v35
	v_fma_f32 v51, -v58, v73, v59
	s_mov_b32 vcc_lo, s3
	v_fma_f32 v42, -v60, v63, v61
	v_mul_f32_e64 v46, v48, -v41
	v_mov_b32_dpp v48, v6 quad_perm:[1,0,3,2] row_mask:0xf bank_mask:0xf
	v_div_fmas_f32 v38, v51, v38, v73
	v_div_fixup_f32 v36, v36, 0x41d80000, v37
	s_mov_b32 vcc_lo, s4
	s_delay_alu instid0(VALU_DEP_3)
	v_dual_mul_f32 v49, 4.0, v5 :: v_dual_sub_f32 v6, v6, v48
	v_mul_f32_e32 v39, v5, v45
	v_div_fmas_f32 v42, v42, v68, v63
	v_fmamk_f32 v37, v44, 0x3e800000, v41
	v_div_fixup_f32 v38, v38, 0x41100000, v40
	v_add_f32_e32 v36, v50, v36
	v_dual_mul_f32 v44, v6, v6 :: v_dual_mul_f32 v45, 0x40c00000, v45
	v_mul_f32_e32 v5, v5, v39
	v_div_fixup_f32 v40, v42, 0x40400000, v47
	v_mov_b32_dpp v43, v37 quad_perm:[1,0,3,2] row_mask:0xf bank_mask:0xf
	v_add_f32_e32 v36, v38, v36
	v_dual_mul_f32 v38, v6, v44 :: v_dual_mul_f32 v39, 0x40400000, v39
	v_mul_f32_e32 v41, v41, v45
	s_delay_alu instid0(VALU_DEP_4) | instskip(NEXT) | instid1(VALU_DEP_4)
	v_dual_mul_f32 v45, 4.0, v6 :: v_dual_mul_f32 v52, -4.0, v43
	v_dual_mul_f32 v47, 0x40400000, v6 :: v_dual_add_f32 v36, v40, v36
	s_delay_alu instid0(VALU_DEP_4) | instskip(SKIP_3) | instid1(VALU_DEP_4)
	v_dual_add_f32 v39, v39, v39 :: v_dual_mul_f32 v6, v6, v38
	v_mul_f32_e64 v42, v49, -v35
	v_mul_f32_e32 v38, v38, v9
	v_mul_f32_e32 v21, v21, v37
	v_dual_fmamk_f32 v35, v39, 0x3d800000, v35 :: v_dual_mul_f32 v6, v6, v9
	v_dual_mul_f32 v5, 0x40400000, v5 :: v_dual_add_f32 v50, v37, v43
	s_delay_alu instid0(VALU_DEP_4) | instskip(SKIP_1) | instid1(VALU_DEP_4)
	v_dual_mul_f32 v38, 4.0, v38 :: v_dual_mul_f32 v51, v44, v9
	v_mul_f32_e32 v44, 0x40c00000, v44
	v_dual_fmac_f32 v21, 0x41800000, v43 :: v_dual_mul_f32 v6, 4.0, v6
	v_div_scale_f32 v39, null, v3, v3, v45
	v_dual_fmac_f32 v35, 0x3e800000, v46 :: v_dual_fmac_f32 v52, v37, v9
	v_mul_f32_e32 v5, 0x40e00000, v5
	s_delay_alu instid0(VALU_DEP_4) | instskip(NEXT) | instid1(VALU_DEP_4)
	v_dual_mul_f32 v21, v44, v21 :: v_dual_mul_f32 v6, v31, v6
	v_rcp_f32_e32 v40, v39
	s_delay_alu instid0(VALU_DEP_3) | instskip(SKIP_1) | instid1(VALU_DEP_3)
	v_mul_f32_e32 v46, v47, v52
	v_div_scale_f32 v49, vcc_lo, v45, v3, v45
	v_div_scale_f32 v59, s4, v6, v26, v6
	v_fmamk_f32 v5, v5, 0x3c800000, v36
	v_mov_b32_dpp v36, v35 quad_perm:[1,0,3,2] row_mask:0xf bank_mask:0xf
	v_mul_f32_e32 v30, v30, v38
	v_div_scale_f32 v38, null, v3, v3, v46
	v_div_scale_f32 v47, null, v25, v25, v21
	s_delay_alu instid0(VALU_DEP_4) | instskip(SKIP_1) | instid1(VALU_DEP_4)
	v_add_f32_e32 v53, v35, v36
	v_mul_f32_e32 v36, -4.0, v36
	v_rcp_f32_e32 v56, v38
	v_div_scale_f32 v58, null, v26, v26, v6
	v_rcp_f32_e32 v55, v47
	s_delay_alu instid0(VALU_DEP_2)
	v_fmac_f32_e32 v36, v35, v9
	v_fmac_f32_e32 v5, 0x3d800000, v41
	v_fma_f32 v41, -v39, v40, 1.0
	v_mul_f32_e32 v43, 4.0, v51
	v_div_scale_f32 v54, s2, v46, v3, v46
	v_div_scale_f32 v51, s1, v21, v25, v21
	s_delay_alu instid0(VALU_DEP_4) | instskip(NEXT) | instid1(VALU_DEP_4)
	v_fmac_f32_e32 v40, v41, v40
	v_div_scale_f32 v37, null, v3, v3, v43
	v_div_scale_f32 v44, s0, v43, v3, v43
	s_delay_alu instid0(VALU_DEP_3) | instskip(NEXT) | instid1(VALU_DEP_3)
	v_mul_f32_e32 v31, v49, v40
	v_rcp_f32_e32 v52, v37
	v_mul_f32_e32 v36, v45, v36
	v_div_scale_f32 v41, null, v25, v25, v30
	s_delay_alu instid0(VALU_DEP_3) | instskip(SKIP_1) | instid1(VALU_DEP_4)
	v_fma_f32 v61, -v39, v31, v49
	v_fma_f32 v60, -v47, v55, 1.0
	v_div_scale_f32 v62, s5, v36, v3, v36
	s_delay_alu instid0(VALU_DEP_4) | instskip(NEXT) | instid1(VALU_DEP_3)
	v_rcp_f32_e32 v57, v41
	v_fmac_f32_e32 v31, v61, v40
	s_delay_alu instid0(TRANS32_DEP_2) | instskip(SKIP_2) | instid1(VALU_DEP_4)
	v_fma_f32 v35, -v37, v52, 1.0
	v_fmac_f32_e32 v5, 0x3e800000, v42
	v_div_scale_f32 v42, s3, v30, v25, v30
	v_fma_f32 v39, -v39, v31, v49
	s_delay_alu instid0(VALU_DEP_4) | instskip(NEXT) | instid1(VALU_DEP_4)
	v_fmac_f32_e32 v52, v35, v52
	v_mov_b32_dpp v9, v5 quad_perm:[1,0,3,2] row_mask:0xf bank_mask:0xf
	v_fma_f32 v35, -v38, v56, 1.0
	s_delay_alu instid0(TRANS32_DEP_1) | instskip(SKIP_4) | instid1(VALU_DEP_3)
	v_fma_f32 v63, -v41, v57, 1.0
	v_div_fmas_f32 v31, v39, v40, v31
	v_mul_f32_e32 v61, v44, v52
	s_mov_b32 vcc_lo, s0
	v_dual_add_f32 v5, v5, v9 :: v_dual_fmac_f32 v56, v35, v56
	v_div_fixup_f32 v31, v31, v3, v45
	s_delay_alu instid0(VALU_DEP_3) | instskip(SKIP_3) | instid1(VALU_DEP_3)
	v_fma_f32 v49, -v37, v61, v44
	v_rcp_f32_e32 v9, v58
	v_fmac_f32_e32 v55, v60, v55
	v_div_scale_f32 v60, null, v3, v3, v36
	v_fmac_f32_e32 v61, v49, v52
	v_add_f32_e32 v31, v31, v48
	s_delay_alu instid0(VALU_DEP_3) | instskip(NEXT) | instid1(VALU_DEP_2)
	v_rcp_f32_e32 v64, v60
	v_fma_f32 v37, -v37, v61, v44
	s_delay_alu instid0(TRANS32_DEP_2) | instskip(NEXT) | instid1(VALU_DEP_2)
	v_fma_f32 v65, -v58, v9, 1.0
	v_div_fmas_f32 v37, v37, v52, v61
	s_delay_alu instid0(VALU_DEP_2)
	v_fmac_f32_e32 v9, v65, v9
	s_mov_b32 vcc_lo, s3
	s_waitcnt_depctr 0xfff
	v_fma_f32 v49, -v60, v64, 1.0
	v_div_fixup_f32 v37, v37, v3, v43
	v_mov_b32_dpp v43, v31 quad_perm:[2,3,0,1] row_mask:0xf bank_mask:0xf
	s_delay_alu instid0(VALU_DEP_2) | instskip(NEXT) | instid1(VALU_DEP_2)
	v_dual_fmac_f32 v64, v49, v64 :: v_dual_add_f32 v37, v50, v37
	v_sub_f32_e32 v31, v31, v43
	v_fmac_f32_e32 v57, v63, v57
	s_delay_alu instid0(VALU_DEP_2) | instskip(NEXT) | instid1(VALU_DEP_2)
	v_dual_mul_f32 v63, v54, v56 :: v_dual_mul_f32 v48, 4.0, v31
	v_mul_f32_e32 v39, v42, v57
	s_delay_alu instid0(VALU_DEP_2) | instskip(NEXT) | instid1(VALU_DEP_2)
	v_fma_f32 v40, -v38, v63, v54
	v_fma_f32 v44, -v41, v39, v42
	s_delay_alu instid0(VALU_DEP_2) | instskip(NEXT) | instid1(VALU_DEP_2)
	v_dual_fmac_f32 v63, v40, v56 :: v_dual_mul_f32 v40, v59, v9
	v_fmac_f32_e32 v39, v44, v57
	s_delay_alu instid0(VALU_DEP_2) | instskip(NEXT) | instid1(VALU_DEP_3)
	v_fma_f32 v38, -v38, v63, v54
	v_fma_f32 v44, -v58, v40, v59
	s_delay_alu instid0(VALU_DEP_3) | instskip(NEXT) | instid1(VALU_DEP_2)
	v_fma_f32 v41, -v41, v39, v42
	v_fmac_f32_e32 v40, v44, v9
	v_mul_f32_e32 v44, 0x40400000, v31
	s_delay_alu instid0(VALU_DEP_3) | instskip(SKIP_1) | instid1(VALU_DEP_3)
	v_div_fmas_f32 v39, v41, v57, v39
	s_mov_b32 vcc_lo, s2
	v_fma_f32 v41, -v58, v40, v59
	v_div_fmas_f32 v38, v38, v56, v63
	s_mov_b32 vcc_lo, s4
	v_div_fixup_f32 v30, v39, v25, v30
	v_mul_f32_e32 v35, v51, v55
	v_div_fmas_f32 v9, v41, v9, v40
	v_mov_b32_dpp v40, v37 quad_perm:[2,3,0,1] row_mask:0xf bank_mask:0xf
	v_div_fixup_f32 v38, v38, v3, v46
	v_add_f32_e32 v30, v53, v30
	v_fma_f32 v66, -v47, v35, v51
	s_delay_alu instid0(VALU_DEP_4) | instskip(SKIP_1) | instid1(VALU_DEP_3)
	v_dual_mul_f32 v41, v31, v31 :: v_dual_add_f32 v46, v37, v40
	v_mul_f32_e32 v49, v3, v40
	v_dual_mul_f32 v40, v25, v40 :: v_dual_fmac_f32 v35, v66, v55
	s_mov_b32 vcc_lo, s1
	v_div_fixup_f32 v6, v9, v26, v6
	v_mul_f32_e32 v26, v31, v41
	s_delay_alu instid0(VALU_DEP_3) | instskip(SKIP_3) | instid1(VALU_DEP_3)
	v_fmac_f32_e32 v40, v23, v37
	v_fma_f32 v45, -v47, v35, v51
	v_mul_f32_e32 v47, v62, v64
	v_add_f32_e32 v5, v5, v6
	v_div_fmas_f32 v35, v45, v55, v35
	s_delay_alu instid0(VALU_DEP_3) | instskip(SKIP_1) | instid1(VALU_DEP_2)
	v_fma_f32 v42, -v60, v47, v62
	s_mov_b32 vcc_lo, s5
	v_div_fixup_f32 v21, v35, v25, v21
	s_delay_alu instid0(VALU_DEP_2) | instskip(SKIP_1) | instid1(VALU_DEP_3)
	v_dual_fmac_f32 v47, v42, v64 :: v_dual_mul_f32 v42, v3, v31
	v_fma_f32 v35, v37, v11, -v49
	v_add_f32_e32 v5, v21, v5
	s_delay_alu instid0(VALU_DEP_3) | instskip(NEXT) | instid1(VALU_DEP_3)
	v_fma_f32 v39, -v60, v47, v62
	v_mul_f32_e32 v35, v44, v35
	s_delay_alu instid0(VALU_DEP_2) | instskip(SKIP_3) | instid1(VALU_DEP_4)
	v_div_fmas_f32 v9, v39, v64, v47
	v_div_scale_f32 v39, null, v7, v7, v42
	v_mul_f32_e32 v47, v41, v11
	v_div_scale_f32 v45, vcc_lo, v42, v7, v42
	v_div_fixup_f32 v6, v9, v3, v36
	v_dual_mul_f32 v9, v31, v26 :: v_dual_mul_f32 v26, v26, v11
	s_delay_alu instid0(VALU_DEP_4) | instskip(SKIP_1) | instid1(VALU_DEP_4)
	v_mul_f32_e32 v31, v3, v47
	v_mul_f32_e32 v41, 0x40c00000, v41
	v_add_f32_e32 v5, v6, v5
	s_delay_alu instid0(VALU_DEP_4) | instskip(NEXT) | instid1(VALU_DEP_4)
	v_dual_mul_f32 v9, v9, v11 :: v_dual_mul_f32 v26, v3, v26
	v_div_scale_f32 v23, null, v7, v7, v31
	s_delay_alu instid0(VALU_DEP_4) | instskip(NEXT) | instid1(VALU_DEP_3)
	v_mul_f32_e32 v37, v41, v40
	v_dual_mul_f32 v9, v3, v9 :: v_dual_mul_f32 v26, v32, v26
	v_div_scale_f32 v36, s0, v31, v7, v31
	v_div_scale_f32 v32, null, v7, v7, v35
	s_delay_alu instid0(VALU_DEP_3)
	v_div_scale_f32 v49, s3, v26, v16, v26
	v_add_f32_e32 v25, v38, v30
	v_rcp_f32_e32 v30, v39
	v_rcp_f32_e32 v38, v23
	;; [unrolled: 1-line block ×3, first 2 shown]
	v_mul_f32_e32 v9, v20, v9
	v_mov_b32_dpp v21, v25 quad_perm:[2,3,0,1] row_mask:0xf bank_mask:0xf
	v_div_scale_f32 v44, null, v16, v16, v37
	s_delay_alu instid0(VALU_DEP_2) | instskip(NEXT) | instid1(TRANS32_DEP_3)
	v_mul_f32_e32 v3, v3, v21
	v_fma_f32 v6, -v39, v30, 1.0
	s_delay_alu instid0(VALU_DEP_3) | instskip(NEXT) | instid1(VALU_DEP_2)
	v_rcp_f32_e32 v20, v44
	v_fma_f32 v3, v25, v11, -v3
	s_delay_alu instid0(VALU_DEP_2) | instskip(SKIP_1) | instid1(VALU_DEP_3)
	v_fmac_f32_e32 v30, v6, v30
	v_div_scale_f32 v6, null, v16, v16, v26
	v_mul_f32_e32 v3, v48, v3
	s_delay_alu instid0(VALU_DEP_3) | instskip(NEXT) | instid1(VALU_DEP_3)
	v_mul_f32_e32 v11, v45, v30
	v_rcp_f32_e32 v51, v6
	s_delay_alu instid0(TRANS32_DEP_2) | instskip(NEXT) | instid1(VALU_DEP_3)
	v_fma_f32 v54, -v44, v20, 1.0
	v_div_scale_f32 v55, null, v7, v7, v3
	s_delay_alu instid0(VALU_DEP_3) | instskip(SKIP_1) | instid1(VALU_DEP_2)
	v_fma_f32 v48, -v39, v11, v45
	v_div_scale_f32 v56, s5, v3, v7, v3
	v_dual_fmac_f32 v20, v54, v20 :: v_dual_fmac_f32 v11, v48, v30
	s_waitcnt_depctr 0xfff
	v_fma_f32 v57, -v6, v51, 1.0
	v_fma_f32 v39, -v39, v11, v45
	s_delay_alu instid0(VALU_DEP_2) | instskip(NEXT) | instid1(VALU_DEP_2)
	v_fmac_f32_e32 v51, v57, v51
	v_div_fmas_f32 v11, v39, v30, v11
	s_delay_alu instid0(VALU_DEP_2) | instskip(SKIP_4) | instid1(VALU_DEP_2)
	v_mul_f32_e32 v30, v49, v51
	v_add_f32_e32 v40, v25, v21
	v_fma_f32 v25, -v23, v38, 1.0
	s_mov_b32 vcc_lo, s0
	v_div_fixup_f32 v11, v11, v7, v42
	v_fmac_f32_e32 v38, v25, v38
	v_fma_f32 v25, -v32, v50, 1.0
	s_delay_alu instid0(VALU_DEP_2) | instskip(NEXT) | instid1(VALU_DEP_2)
	v_dual_add_f32 v11, v11, v43 :: v_dual_mul_f32 v48, v36, v38
	v_fmac_f32_e32 v50, v25, v50
	v_rcp_f32_e32 v25, v55
	s_delay_alu instid0(VALU_DEP_2) | instskip(NEXT) | instid1(VALU_DEP_1)
	v_fma_f32 v45, -v23, v48, v36
	v_fmac_f32_e32 v48, v45, v38
	s_delay_alu instid0(VALU_DEP_1) | instskip(SKIP_1) | instid1(VALU_DEP_2)
	v_fma_f32 v23, -v23, v48, v36
	v_fma_f32 v36, -v6, v30, v49
	v_div_fmas_f32 v23, v23, v38, v48
	s_delay_alu instid0(VALU_DEP_2) | instskip(SKIP_1) | instid1(VALU_DEP_2)
	v_fmac_f32_e32 v30, v36, v51
	s_mov_b32 vcc_lo, s3
	v_div_fixup_f32 v23, v23, v7, v31
	s_delay_alu instid0(VALU_DEP_2) | instskip(NEXT) | instid1(VALU_DEP_2)
	v_fma_f32 v6, -v6, v30, v49
	v_add_f32_e32 v23, v46, v23
	s_delay_alu instid0(VALU_DEP_2) | instskip(NEXT) | instid1(VALU_DEP_1)
	v_div_fmas_f32 v6, v6, v51, v30
	v_div_fixup_f32 v6, v6, v16, v26
	s_delay_alu instid0(VALU_DEP_1) | instskip(SKIP_1) | instid1(VALU_DEP_1)
	v_add_f32_e32 v6, v40, v6
	v_mov_b32_dpp v21, v5 quad_perm:[2,3,0,1] row_mask:0xf bank_mask:0xf
	v_add_f32_e32 v5, v5, v21
	v_div_scale_f32 v21, null, v29, v29, v9
	s_delay_alu instid0(VALU_DEP_1) | instskip(SKIP_2) | instid1(VALU_DEP_1)
	v_rcp_f32_e32 v53, v21
	s_waitcnt_depctr 0xfff
	v_fma_f32 v57, -v21, v53, 1.0
	v_fmac_f32_e32 v53, v57, v53
	v_fma_f32 v57, -v55, v25, 1.0
	s_delay_alu instid0(VALU_DEP_1) | instskip(NEXT) | instid1(VALU_DEP_1)
	v_fmac_f32_e32 v25, v57, v25
	v_mul_f32_e32 v38, v56, v25
	s_delay_alu instid0(VALU_DEP_1) | instskip(NEXT) | instid1(VALU_DEP_1)
	v_fma_f32 v31, -v55, v38, v56
	v_fmac_f32_e32 v38, v31, v25
	v_div_scale_f32 v41, s1, v35, v7, v35
	v_mov_b32_dpp v31, v23 row_ror:4 row_mask:0xf bank_mask:0xf
	s_mov_b32 vcc_lo, s1
	s_delay_alu instid0(VALU_DEP_3) | instskip(NEXT) | instid1(VALU_DEP_3)
	v_fma_f32 v26, -v55, v38, v56
	v_mul_f32_e32 v54, v41, v50
	s_delay_alu instid0(VALU_DEP_3) | instskip(SKIP_1) | instid1(VALU_DEP_3)
	v_mul_f32_e32 v40, v7, v31
	v_div_scale_f32 v52, s4, v9, v29, v9
	v_fma_f32 v39, -v32, v54, v41
	s_delay_alu instid0(VALU_DEP_1) | instskip(NEXT) | instid1(VALU_DEP_1)
	v_dual_fmac_f32 v54, v39, v50 :: v_dual_mul_f32 v39, v52, v53
	v_fma_f32 v32, -v32, v54, v41
	s_delay_alu instid0(VALU_DEP_2) | instskip(NEXT) | instid1(VALU_DEP_2)
	v_fma_f32 v36, -v21, v39, v52
	v_div_fmas_f32 v30, v32, v50, v54
	s_delay_alu instid0(VALU_DEP_2) | instskip(SKIP_2) | instid1(VALU_DEP_3)
	v_fmac_f32_e32 v39, v36, v53
	v_mov_b32_dpp v36, v11 row_ror:4 row_mask:0xf bank_mask:0xf
	s_mov_b32 vcc_lo, s4
	v_div_fixup_f32 v30, v30, v7, v35
	s_delay_alu instid0(VALU_DEP_3) | instskip(NEXT) | instid1(VALU_DEP_3)
	v_fma_f32 v21, -v21, v39, v52
	v_sub_f32_e32 v11, v11, v36
	v_add_f32_e32 v35, v23, v31
	s_delay_alu instid0(VALU_DEP_4) | instskip(NEXT) | instid1(VALU_DEP_4)
	v_dual_mul_f32 v31, v16, v31 :: v_dual_add_f32 v6, v30, v6
	v_div_fmas_f32 v21, v21, v53, v39
	s_delay_alu instid0(VALU_DEP_4) | instskip(SKIP_4) | instid1(VALU_DEP_3)
	v_mul_f32_e32 v42, 0x40400000, v11
	v_div_scale_f32 v47, s2, v37, v16, v37
	v_mul_f32_e32 v32, v11, v11
	v_mul_f32_e32 v39, v7, v11
	s_mov_b32 vcc_lo, s2
	v_mul_f32_e32 v58, v47, v20
	v_div_fixup_f32 v9, v21, v29, v9
	v_mul_f32_e32 v43, 4.0, v11
	v_fmac_f32_e32 v31, v28, v23
	s_delay_alu instid0(VALU_DEP_4) | instskip(NEXT) | instid1(VALU_DEP_4)
	v_fma_f32 v45, -v44, v58, v47
	v_add_f32_e32 v5, v5, v9
	s_delay_alu instid0(VALU_DEP_2) | instskip(NEXT) | instid1(VALU_DEP_1)
	v_fmac_f32_e32 v58, v45, v20
	v_fma_f32 v41, -v44, v58, v47
	s_delay_alu instid0(VALU_DEP_1)
	v_div_fmas_f32 v20, v41, v20, v58
	s_mov_b32 vcc_lo, s5
	v_div_fmas_f32 v21, v26, v25, v38
	v_mul_f32_e32 v25, v11, v32
	v_div_scale_f32 v26, null, v4, v4, v39
	v_mul_f32_e32 v38, v32, v14
	v_div_fixup_f32 v16, v20, v16, v37
	s_delay_alu instid0(VALU_DEP_4) | instskip(NEXT) | instid1(VALU_DEP_4)
	v_mul_f32_e32 v9, v11, v25
	v_rcp_f32_e32 v11, v26
	v_mul_f32_e32 v32, 0x40c00000, v32
	v_mul_f32_e32 v20, v7, v38
	v_div_fixup_f32 v3, v21, v7, v3
	v_mul_f32_e32 v21, v25, v14
	v_fma_f32 v25, v23, v14, -v40
	v_add_f32_e32 v5, v16, v5
	v_mov_b32_dpp v16, v6 row_ror:4 row_mask:0xf bank_mask:0xf
	v_div_scale_f32 v23, null, v4, v4, v20
	v_mul_f32_e32 v21, v7, v21
	v_mul_f32_e32 v25, v42, v25
	v_dual_mul_f32 v9, v9, v14 :: v_dual_mul_f32 v30, v32, v31
	v_add_f32_e32 v3, v3, v5
	v_fma_f32 v5, -v26, v11, 1.0
	v_rcp_f32_e32 v31, v23
	v_mul_f32_e32 v21, v34, v21
	v_div_scale_f32 v34, null, v4, v4, v25
	v_mul_f32_e32 v9, v7, v9
	v_mul_f32_e32 v7, v7, v16
	v_div_scale_f32 v29, vcc_lo, v39, v4, v39
	v_add_f32_e32 v32, v6, v16
	v_div_scale_f32 v38, null, v24, v24, v30
	v_mov_b32_dpp v16, v3 row_ror:4 row_mask:0xf bank_mask:0xf
	v_fmac_f32_e32 v11, v5, v11
	v_div_scale_f32 v5, null, v24, v24, v21
	v_rcp_f32_e32 v42, v34
	v_mul_f32_e32 v9, v33, v9
	v_fma_f32 v6, v6, v14, -v7
	v_rcp_f32_e32 v33, v38
	v_mul_f32_e32 v7, v29, v11
	v_fma_f32 v14, -v23, v31, 1.0
	v_rcp_f32_e32 v44, v5
	v_add_f32_e32 v3, v3, v16
	v_div_scale_f32 v16, null, v27, v27, v9
	v_mul_f32_e32 v6, v43, v6
	v_div_scale_f32 v28, s0, v20, v4, v20
	v_fma_f32 v43, -v26, v7, v29
	v_fmac_f32_e32 v31, v14, v31
	v_fma_f32 v14, -v34, v42, 1.0
	v_rcp_f32_e32 v46, v16
	v_div_scale_f32 v48, null, v4, v4, v6
	v_div_scale_f32 v37, s1, v25, v4, v25
	v_fma_f32 v47, -v38, v33, 1.0
	v_fmac_f32_e32 v7, v43, v11
	v_mul_f32_e32 v43, v28, v31
	v_fma_f32 v50, -v5, v44, 1.0
	v_fmac_f32_e32 v42, v14, v42
	v_rcp_f32_e32 v14, v48
	v_div_scale_f32 v40, s2, v30, v24, v30
	v_div_scale_f32 v41, s3, v21, v24, v21
	v_fmac_f32_e32 v33, v47, v33
	v_fma_f32 v26, -v26, v7, v29
	v_fma_f32 v29, -v23, v43, v28
	v_dual_fmac_f32 v44, v50, v44 :: v_dual_mul_f32 v47, v37, v42
	v_fma_f32 v50, -v16, v46, 1.0
	v_div_scale_f32 v45, s4, v9, v27, v9
	v_mul_f32_e32 v51, v40, v33
	v_div_fmas_f32 v7, v26, v11, v7
	v_fmac_f32_e32 v43, v29, v31
	v_mul_f32_e32 v11, v41, v44
	v_fma_f32 v26, -v34, v47, v37
	v_fmac_f32_e32 v46, v50, v46
	v_fma_f32 v50, -v48, v14, 1.0
	v_div_scale_f32 v49, s5, v6, v4, v6
	v_fma_f32 v29, -v38, v51, v40
	v_div_fixup_f32 v7, v7, v4, v39
	v_fma_f32 v23, -v23, v43, v28
	v_fma_f32 v28, -v5, v11, v41
	v_fmac_f32_e32 v47, v26, v42
	v_mul_f32_e32 v26, v45, v46
	v_fmac_f32_e32 v14, v50, v14
	s_mov_b32 vcc_lo, s0
	v_fmac_f32_e32 v51, v29, v33
	v_add_f32_e32 v7, v7, v36
	v_div_fmas_f32 v23, v23, v31, v43
	v_fmac_f32_e32 v11, v28, v44
	v_fma_f32 v29, -v16, v26, v45
	v_mul_f32_e32 v31, v49, v14
	v_fma_f32 v28, -v34, v47, v37
	v_div_fixup_f32 v20, v23, v4, v20
	v_fma_f32 v5, -v5, v11, v41
	v_fmac_f32_e32 v26, v29, v46
	v_fma_f32 v23, -v48, v31, v49
	v_mov_b32_dpp v29, v7 row_ror:8 row_mask:0xf bank_mask:0xf
	s_mov_b32 vcc_lo, s3
	v_fma_f32 v34, -v38, v51, v40
	v_div_fmas_f32 v5, v5, v44, v11
	v_fma_f32 v11, -v16, v26, v45
	v_fmac_f32_e32 v31, v23, v14
	v_sub_f32_e32 v7, v7, v29
	s_mov_b32 vcc_lo, s1
	v_div_fixup_f32 v5, v5, v24, v21
	v_div_fmas_f32 v16, v28, v42, v47
	s_mov_b32 vcc_lo, s4
	v_fma_f32 v21, -v48, v31, v49
	v_div_fmas_f32 v11, v11, v46, v26
	v_mul_f32_e32 v26, v7, v7
	s_mov_b32 vcc_lo, s2
	v_div_fixup_f32 v16, v16, v4, v25
	v_div_fmas_f32 v25, v34, v33, v51
	s_mov_b32 vcc_lo, s5
	v_div_fixup_f32 v9, v11, v27, v9
	v_div_fmas_f32 v11, v21, v14, v31
	v_mul_f32_e32 v14, v7, v26
	v_dual_mul_f32 v28, v4, v7 :: v_dual_mul_f32 v31, v26, v13
	v_add_f32_e32 v5, v32, v5
	s_delay_alu instid0(VALU_DEP_4) | instskip(NEXT) | instid1(VALU_DEP_4)
	v_div_fixup_f32 v6, v11, v4, v6
	v_dual_mul_f32 v11, v14, v13 :: v_dual_mul_f32 v14, v7, v14
	s_delay_alu instid0(VALU_DEP_4) | instskip(SKIP_1) | instid1(VALU_DEP_3)
	v_div_scale_f32 v21, null, v2, v2, v28
	v_add_f32_e32 v3, v3, v9
	v_dual_mul_f32 v9, v4, v31 :: v_dual_mul_f32 v14, v14, v13
	v_add_f32_e32 v5, v16, v5
	s_delay_alu instid0(VALU_DEP_4) | instskip(SKIP_1) | instid1(VALU_DEP_3)
	v_rcp_f32_e32 v16, v21
	v_div_scale_f32 v27, vcc_lo, v28, v2, v28
	v_mul_f32_e32 v14, v4, v14
	v_dual_add_f32 v20, v35, v20 :: v_dual_mul_f32 v35, 0x40400000, v7
	v_dual_mul_f32 v11, v4, v11 :: v_dual_mul_f32 v26, 0x40c00000, v26
	s_delay_alu instid0(VALU_DEP_3) | instskip(NEXT) | instid1(VALU_DEP_3)
	v_mul_f32_e32 v14, v19, v14
	v_mov_b32_dpp v23, v20 row_ror:8 row_mask:0xf bank_mask:0xf
	s_delay_alu instid0(TRANS32_DEP_1) | instskip(NEXT) | instid1(VALU_DEP_4)
	v_fma_f32 v31, -v21, v16, 1.0
	v_mul_f32_e32 v11, v22, v11
	v_div_scale_f32 v22, s0, v9, v2, v9
	s_delay_alu instid0(VALU_DEP_4) | instskip(SKIP_3) | instid1(VALU_DEP_3)
	v_mul_f32_e32 v33, v24, v23
	v_div_fixup_f32 v24, v25, v24, v30
	v_div_scale_f32 v25, null, v2, v2, v9
	v_mul_f32_e32 v32, v4, v23
	v_dual_fmac_f32 v16, v31, v16 :: v_dual_add_f32 v3, v24, v3
	s_delay_alu instid0(VALU_DEP_3) | instskip(SKIP_1) | instid1(VALU_DEP_3)
	v_rcp_f32_e32 v24, v25
	v_div_scale_f32 v31, null, v8, v8, v11
	v_fma_f32 v30, v20, v13, -v32
	s_delay_alu instid0(VALU_DEP_3) | instskip(NEXT) | instid1(VALU_DEP_3)
	v_dual_mul_f32 v34, v27, v16 :: v_dual_add_f32 v3, v6, v3
	v_rcp_f32_e32 v6, v31
	v_mov_b32_dpp v32, v5 row_ror:8 row_mask:0xf bank_mask:0xf
	s_delay_alu instid0(VALU_DEP_3) | instskip(NEXT) | instid1(VALU_DEP_3)
	v_mul_f32_e32 v30, v35, v30
	v_fma_f32 v36, -v21, v34, v27
	s_delay_alu instid0(TRANS32_DEP_2) | instskip(SKIP_2) | instid1(VALU_DEP_4)
	v_fma_f32 v35, -v25, v24, 1.0
	v_div_scale_f32 v19, null, v15, v15, v14
	v_fmac_f32_e32 v33, v18, v20
	v_fmac_f32_e32 v34, v36, v16
	s_delay_alu instid0(VALU_DEP_4) | instskip(SKIP_2) | instid1(VALU_DEP_3)
	v_fmac_f32_e32 v24, v35, v24
	v_div_scale_f32 v35, null, v2, v2, v30
	v_div_scale_f32 v38, s1, v11, v8, v11
	v_mul_f32_e32 v37, v22, v24
	v_fma_f32 v21, -v21, v34, v27
	v_fma_f32 v27, -v31, v6, 1.0
	v_mul_f32_e32 v4, v4, v32
	v_add_f32_e32 v18, v20, v23
	v_fma_f32 v39, -v25, v37, v22
	v_div_fmas_f32 v16, v21, v16, v34
	v_rcp_f32_e32 v21, v35
	s_mov_b32 vcc_lo, s0
	v_fmac_f32_e32 v6, v27, v6
	v_fmac_f32_e32 v37, v39, v24
	v_rcp_f32_e32 v27, v19
	v_div_scale_f32 v23, s0, v30, v2, v30
	v_mul_f32_e32 v7, 4.0, v7
	s_delay_alu instid0(VALU_DEP_3)
	v_fma_f32 v22, -v25, v37, v22
	v_mul_f32_e32 v25, v38, v6
	v_fma_f32 v4, v5, v13, -v4
	v_div_fixup_f32 v16, v16, v2, v28
	v_add_f32_e32 v5, v5, v32
	v_div_fmas_f32 v22, v22, v24, v37
	v_fma_f32 v24, -v35, v21, 1.0
	v_fma_f32 v20, -v31, v25, v38
	v_mul_f32_e32 v4, v7, v4
	v_add_f32_e32 v16, v16, v29
	v_div_fixup_f32 v9, v22, v2, v9
	v_mul_f32_e32 v22, v26, v33
	v_fmac_f32_e32 v21, v24, v21
	v_fma_f32 v24, -v19, v27, 1.0
	v_fmac_f32_e32 v25, v20, v6
	v_div_scale_f32 v29, null, v2, v2, v4
	v_div_scale_f32 v26, null, v8, v8, v22
	s_delay_alu instid0(VALU_DEP_4) | instskip(SKIP_1) | instid1(VALU_DEP_3)
	v_dual_mul_f32 v28, v23, v21 :: v_dual_fmac_f32 v27, v24, v27
	v_div_scale_f32 v24, s2, v14, v15, v14
	v_rcp_f32_e32 v13, v26
	s_delay_alu instid0(VALU_DEP_2) | instskip(SKIP_1) | instid1(VALU_DEP_3)
	v_fma_f32 v7, -v35, v28, v23
	v_fma_f32 v31, -v31, v25, v38
	v_mul_f32_e32 v20, v24, v27
	v_rcp_f32_e32 v33, v29
	s_mov_b32 vcc_lo, s1
	v_fmac_f32_e32 v28, v7, v21
	v_div_fmas_f32 v6, v31, v6, v25
	v_fma_f32 v7, -v19, v20, v24
	ds_swizzle_b32 v31, v16 offset:swizzle(BROADCAST,32,15)
	v_fma_f32 v32, -v26, v13, 1.0
	v_fma_f32 v23, -v35, v28, v23
	s_mov_b32 vcc_lo, s0
	v_fmac_f32_e32 v20, v7, v27
	v_fma_f32 v25, -v29, v33, 1.0
	v_fmac_f32_e32 v13, v32, v13
	v_div_scale_f32 v32, s3, v22, v8, v22
	v_div_fmas_f32 v21, v23, v21, v28
	ds_swizzle_b32 v23, v2 offset:swizzle(BROADCAST,32,15)
	v_fma_f32 v19, -v19, v20, v24
	v_mul_f32_e32 v7, v32, v13
	v_fmac_f32_e32 v33, v25, v33
	v_div_scale_f32 v25, s0, v4, v2, v4
	s_mov_b32 vcc_lo, s2
	s_delay_alu instid0(VALU_DEP_3) | instskip(SKIP_1) | instid1(VALU_DEP_3)
	v_fma_f32 v24, -v26, v7, v32
	v_div_fmas_f32 v19, v19, v27, v20
	v_mul_f32_e32 v20, v25, v33
	v_mov_b32_dpp v36, v3 row_ror:8 row_mask:0xf bank_mask:0xf
	v_div_fixup_f32 v6, v6, v8, v11
	v_fmac_f32_e32 v7, v24, v13
	v_div_fixup_f32 v11, v19, v15, v14
	v_fma_f32 v15, -v29, v20, v25
	s_waitcnt lgkmcnt(1)
	v_sub_f32_e32 v16, v16, v31
	s_mov_b32 vcc_lo, s3
	v_fma_f32 v14, -v26, v7, v32
	v_add_f32_e32 v3, v3, v36
	v_dual_fmac_f32 v20, v15, v33 :: v_dual_add_f32 v5, v5, v6
	v_div_fixup_f32 v19, v21, v2, v30
	s_delay_alu instid0(VALU_DEP_4)
	v_div_fmas_f32 v7, v14, v13, v7
	s_waitcnt lgkmcnt(0)
	v_add_f32_e32 v13, v2, v23
	v_dual_mul_f32 v14, v2, v16 :: v_dual_add_f32 v3, v3, v11
	v_fma_f32 v11, -v29, v20, v25
	s_mov_b32 vcc_lo, s0
	v_div_fixup_f32 v7, v7, v8, v22
	s_delay_alu instid0(VALU_DEP_3) | instskip(NEXT) | instid1(VALU_DEP_3)
	v_div_scale_f32 v15, null, v13, v13, v14
	v_div_fmas_f32 v11, v11, v33, v20
	v_cmp_gt_f32_e32 vcc_lo, v12, v17
	s_delay_alu instid0(VALU_DEP_4) | instskip(NEXT) | instid1(VALU_DEP_4)
	v_add_f32_e32 v3, v7, v3
	v_rcp_f32_e32 v6, v15
	v_add_f32_e32 v9, v18, v9
	v_div_fixup_f32 v4, v11, v2, v4
	v_cndmask_b32_e32 v7, v17, v12, vcc_lo
	ds_swizzle_b32 v12, v10 offset:swizzle(BROADCAST,32,15)
	v_add_f32_e32 v5, v19, v5
	ds_swizzle_b32 v18, v9 offset:swizzle(BROADCAST,32,15)
	v_add_f32_e32 v3, v4, v3
	v_mul_f32_e32 v4, v16, v16
	v_sub_f32_e32 v32, v23, v2
	v_fma_f32 v11, -v15, v6, 1.0
	v_mul_f32_e32 v22, v13, v13
	ds_swizzle_b32 v20, v5 offset:swizzle(BROADCAST,32,15)
	v_mul_f32_e32 v19, v4, v23
	v_dual_mul_f32 v21, v16, v4 :: v_dual_fmac_f32 v6, v11, v6
	v_div_scale_f32 v11, vcc_lo, v14, v13, v14
	s_delay_alu instid0(VALU_DEP_3) | instskip(NEXT) | instid1(VALU_DEP_3)
	v_mul_f32_e32 v19, v2, v19
	v_dual_mul_f32 v26, v21, v23 :: v_dual_mul_f32 v21, v16, v21
	s_delay_alu instid0(VALU_DEP_3) | instskip(SKIP_1) | instid1(VALU_DEP_4)
	v_mul_f32_e32 v24, v11, v6
	v_mul_f32_e32 v29, v13, v22
	v_div_scale_f32 v25, null, v13, v13, v19
	s_delay_alu instid0(VALU_DEP_4) | instskip(NEXT) | instid1(VALU_DEP_4)
	v_mul_f32_e32 v26, v2, v26
	v_fma_f32 v28, -v15, v24, v11
	s_waitcnt lgkmcnt(2)
	v_cmp_lt_f32_e64 s0, v10, v12
	v_rcp_f32_e32 v30, v25
	s_waitcnt lgkmcnt(1)
	v_dual_mul_f32 v21, v21, v23 :: v_dual_mul_f32 v8, v8, v18
	v_fmac_f32_e32 v24, v28, v6
	v_cndmask_b32_e64 v10, v12, v10, s0
	v_mul_f32_e32 v12, v32, v26
	s_delay_alu instid0(VALU_DEP_4) | instskip(NEXT) | instid1(VALU_DEP_4)
	v_dual_mul_f32 v32, 0x40400000, v16 :: v_dual_mul_f32 v21, v2, v21
	v_fma_f32 v11, -v15, v24, v11
	v_mul_f32_e32 v15, v2, v18
	s_delay_alu instid0(TRANS32_DEP_1) | instskip(SKIP_1) | instid1(VALU_DEP_4)
	v_fma_f32 v26, -v25, v30, 1.0
	v_div_scale_f32 v28, null, v22, v22, v12
	v_div_fmas_f32 v6, v11, v6, v24
	v_mul_f32_e32 v11, v23, v23
	v_fma_f32 v15, v9, v23, -v15
	v_fmac_f32_e32 v30, v26, v30
	v_rcp_f32_e32 v24, v28
	v_div_fixup_f32 v6, v6, v13, v14
	v_fma_f32 v26, -v2, v23, v11
	v_mul_f32_e32 v15, v32, v15
	v_div_scale_f32 v32, vcc_lo, v19, v13, v19
	v_mul_f32_e32 v4, 0x40c00000, v4
	s_delay_alu instid0(VALU_DEP_4) | instskip(SKIP_1) | instid1(VALU_DEP_4)
	v_fmac_f32_e32 v26, v2, v2
	v_fmac_f32_e32 v8, v11, v9
	v_mul_f32_e32 v34, v32, v30
	s_delay_alu instid0(TRANS32_DEP_1) | instskip(SKIP_2) | instid1(VALU_DEP_4)
	v_fma_f32 v14, -v28, v24, 1.0
	v_div_scale_f32 v33, null, v13, v13, v15
	v_mul_f32_e32 v21, v26, v21
	v_fma_f32 v26, -v25, v34, v32
	s_delay_alu instid0(VALU_DEP_4) | instskip(SKIP_4) | instid1(VALU_DEP_3)
	v_fmac_f32_e32 v24, v14, v24
	v_mul_f32_e32 v4, v4, v8
	v_rcp_f32_e32 v35, v33
	v_div_scale_f32 v14, null, v29, v29, v21
	v_fmac_f32_e32 v34, v26, v30
	v_div_scale_f32 v26, null, v22, v22, v4
	s_delay_alu instid0(VALU_DEP_3)
	v_rcp_f32_e32 v37, v14
	s_waitcnt lgkmcnt(0)
	v_mul_f32_e32 v2, v2, v20
	v_mul_f32_e32 v16, 4.0, v16
	v_rcp_f32_e32 v39, v26
	v_div_scale_f32 v11, s0, v12, v22, v12
	s_delay_alu instid0(VALU_DEP_3) | instskip(SKIP_2) | instid1(VALU_DEP_4)
	v_fma_f32 v2, v5, v23, -v2
	v_fma_f32 v36, -v33, v35, 1.0
	v_fma_f32 v23, -v25, v34, v32
	v_mul_f32_e32 v8, v11, v24
	v_fma_f32 v38, -v14, v37, 1.0
	v_mul_f32_e32 v2, v16, v2
	v_fmac_f32_e32 v35, v36, v35
	v_div_scale_f32 v36, s1, v15, v13, v15
	s_delay_alu instid0(VALU_DEP_4)
	v_fmac_f32_e32 v37, v38, v37
	v_fma_f32 v38, -v26, v39, 1.0
	v_div_scale_f32 v40, null, v13, v13, v2
	v_fma_f32 v25, -v28, v8, v11
	v_mul_f32_e32 v32, v36, v35
	v_div_scale_f32 v16, s2, v21, v29, v21
	v_fmac_f32_e32 v39, v38, v39
	v_rcp_f32_e32 v38, v40
	v_fmac_f32_e32 v8, v25, v24
	v_fma_f32 v25, -v33, v32, v36
	v_mul_f32_e32 v41, v16, v37
	v_div_scale_f32 v42, s3, v4, v22, v4
	v_div_fmas_f32 v23, v23, v30, v34
	s_delay_alu instid0(VALU_DEP_4) | instskip(NEXT) | instid1(VALU_DEP_4)
	v_fmac_f32_e32 v32, v25, v35
	v_fma_f32 v25, -v14, v41, v16
	ds_swizzle_b32 v27, v3 offset:swizzle(BROADCAST,32,15)
	v_fma_f32 v30, -v40, v38, 1.0
	v_fma_f32 v11, -v28, v8, v11
	v_mul_f32_e32 v28, v42, v39
	s_mov_b32 vcc_lo, s0
	s_delay_alu instid0(VALU_DEP_3) | instskip(SKIP_3) | instid1(VALU_DEP_4)
	v_dual_fmac_f32 v41, v25, v37 :: v_dual_fmac_f32 v38, v30, v38
	v_div_scale_f32 v25, s0, v2, v13, v2
	v_div_fmas_f32 v8, v11, v24, v8
	v_fma_f32 v24, -v26, v28, v42
	v_fma_f32 v14, -v14, v41, v16
	s_delay_alu instid0(VALU_DEP_4)
	v_mul_f32_e32 v16, v25, v38
	v_fma_f32 v11, -v33, v32, v36
	ds_swizzle_b32 v17, v7 offset:swizzle(BROADCAST,32,15)
	v_fmac_f32_e32 v28, v24, v39
	s_mov_b32 vcc_lo, s1
	v_fma_f32 v24, -v40, v16, v25
	v_div_fmas_f32 v11, v11, v35, v32
	s_mov_b32 vcc_lo, s2
	v_add_f32_e32 v9, v9, v18
	v_div_fmas_f32 v14, v14, v37, v41
	v_fmac_f32_e32 v16, v24, v38
	v_fma_f32 v18, -v26, v28, v42
	s_mov_b32 vcc_lo, s3
	s_waitcnt lgkmcnt(1)
	v_add_f32_e32 v3, v3, v27
	v_div_fixup_f32 v14, v14, v29, v21
	v_div_fixup_f32 v8, v8, v22, v12
	v_div_fmas_f32 v18, v18, v39, v28
	v_fma_f32 v12, -v40, v16, v25
	s_mov_b32 vcc_lo, s0
	v_add_f32_e32 v5, v5, v20
	v_add_f32_e32 v3, v3, v14
	v_div_fixup_f32 v4, v18, v22, v4
	v_div_fmas_f32 v12, v12, v38, v16
	v_div_fixup_f32 v14, v23, v13, v19
	v_add_f32_e32 v5, v5, v8
	v_div_fixup_f32 v8, v11, v13, v15
	v_add_f32_e32 v3, v4, v3
	v_div_fixup_f32 v2, v12, v13, v2
	s_waitcnt lgkmcnt(0)
	v_cmp_gt_f32_e32 vcc_lo, v7, v17
	v_dual_add_f32 v6, v6, v31 :: v_dual_add_f32 v5, v8, v5
	ds_bpermute_b32 v8, v1, v13 offset:124
	v_add_f32_e32 v2, v2, v3
	v_cndmask_b32_e32 v4, v17, v7, vcc_lo
	v_add_f32_e32 v7, v9, v14
	ds_bpermute_b32 v9, v1, v10 offset:124
	ds_bpermute_b32 v11, v1, v6 offset:124
	;; [unrolled: 1-line block ×6, first 2 shown]
	v_mbcnt_lo_u32_b32 v1, -1, 0
	s_mov_b32 s0, exec_lo
	s_delay_alu instid0(VALU_DEP_1)
	v_cmpx_eq_u32_e32 0, v1
	s_cbranch_execz .LBB34_6
; %bb.5:
	v_lshrrev_b32_e32 v2, 5, v0
	s_delay_alu instid0(VALU_DEP_1)
	v_mul_u32_u24_e32 v2, 28, v2
	s_waitcnt lgkmcnt(5)
	ds_store_2addr_b32 v2, v8, v9 offset0:168 offset1:169
	s_waitcnt lgkmcnt(3)
	ds_store_2addr_b32 v2, v10, v11 offset0:170 offset1:171
	;; [unrolled: 2-line block ×3, first 2 shown]
	s_waitcnt lgkmcnt(3)
	ds_store_b32 v2, v14 offset:696
.LBB34_6:
	s_or_b32 exec_lo, exec_lo, s0
	s_delay_alu instid0(SALU_CYCLE_1)
	s_mov_b32 s4, exec_lo
	s_waitcnt lgkmcnt(0)
	s_barrier
	buffer_gl0_inv
	v_cmpx_gt_u32_e32 32, v0
	s_cbranch_execz .LBB34_8
; %bb.7:
	v_and_b32_e32 v2, 7, v1
	s_delay_alu instid0(VALU_DEP_1)
	v_mul_u32_u24_e32 v9, 28, v2
	v_cmp_ne_u32_e32 vcc_lo, 7, v2
	ds_load_2addr_b32 v[3:4], v9 offset0:168 offset1:169
	ds_load_2addr_b32 v[5:6], v9 offset0:170 offset1:171
	;; [unrolled: 1-line block ×3, first 2 shown]
	v_add_co_ci_u32_e32 v10, vcc_lo, 0, v1, vcc_lo
	ds_load_b32 v9, v9 offset:696
	v_lshlrev_b32_e32 v10, 2, v10
	s_waitcnt lgkmcnt(3)
	ds_bpermute_b32 v11, v10, v3
	ds_bpermute_b32 v13, v10, v4
	s_waitcnt lgkmcnt(3)
	ds_bpermute_b32 v15, v10, v7
	s_waitcnt lgkmcnt(2)
	v_add_f32_e32 v19, v3, v11
	v_cmp_gt_u32_e32 vcc_lo, 6, v2
	v_mul_f32_e32 v23, v11, v11
	v_mul_f32_e32 v21, v7, v11
	v_cndmask_b32_e64 v17, 0, 1, vcc_lo
	s_waitcnt lgkmcnt(1)
	v_cmp_gt_f32_e32 vcc_lo, v4, v13
	s_delay_alu instid0(VALU_DEP_2)
	v_lshlrev_b32_e32 v17, 1, v17
	s_waitcnt lgkmcnt(0)
	v_dual_cndmask_b32 v4, v4, v13 :: v_dual_add_f32 v13, v7, v15
	ds_bpermute_b32 v12, v10, v6
	ds_bpermute_b32 v14, v10, v5
	;; [unrolled: 1-line block ×4, first 2 shown]
	v_add_lshl_u32 v17, v17, v1, 2
	s_waitcnt lgkmcnt(3)
	v_sub_f32_e32 v12, v12, v6
	s_waitcnt lgkmcnt(2)
	v_cmp_lt_f32_e32 vcc_lo, v5, v14
	v_mul_f32_e32 v18, v3, v3
	s_waitcnt lgkmcnt(0)
	v_dual_sub_f32 v20, v3, v11 :: v_dual_add_f32 v9, v9, v10
	v_mul_f32_e32 v25, v12, v12
	v_cndmask_b32_e32 v5, v5, v14, vcc_lo
	v_fma_f32 v22, -v3, v11, v18
	v_dual_mul_f32 v18, v18, v15 :: v_dual_mul_f32 v27, 0x40400000, v12
	v_fma_f32 v15, v3, v15, -v21
	v_dual_add_f32 v14, v8, v16 :: v_dual_mul_f32 v29, v3, v25
	v_mul_f32_e32 v8, v8, v11
	v_dual_mul_f32 v24, v19, v19 :: v_dual_mul_f32 v21, v12, v25
	v_dual_mul_f32 v26, v12, v11 :: v_dual_mul_f32 v25, 0x40c00000, v25
	v_mul_f32_e32 v15, v27, v15
	v_mul_f32_e32 v27, v29, v11
	s_delay_alu instid0(VALU_DEP_3) | instskip(NEXT) | instid1(VALU_DEP_3)
	v_div_scale_f32 v28, vcc_lo, v26, v19, v26
	v_div_scale_f32 v30, s0, v15, v19, v15
	v_dual_fmac_f32 v18, v7, v23 :: v_dual_mul_f32 v7, 4.0, v12
	v_fma_f32 v8, v3, v16, -v8
	v_div_scale_f32 v23, null, v19, v19, v26
	v_mul_f32_e32 v16, v19, v24
	v_div_scale_f32 v31, null, v19, v19, v27
	s_delay_alu instid0(VALU_DEP_4) | instskip(NEXT) | instid1(VALU_DEP_4)
	v_dual_mul_f32 v7, v7, v8 :: v_dual_mul_f32 v8, v12, v21
	v_rcp_f32_e32 v12, v23
	v_div_scale_f32 v29, null, v19, v19, v15
	s_delay_alu instid0(VALU_DEP_3) | instskip(SKIP_1) | instid1(VALU_DEP_2)
	v_rcp_f32_e32 v34, v31
	v_div_scale_f32 v35, s1, v27, v19, v27
	v_rcp_f32_e32 v32, v29
	s_delay_alu instid0(TRANS32_DEP_3) | instskip(NEXT) | instid1(VALU_DEP_1)
	v_fma_f32 v33, -v23, v12, 1.0
	v_dual_mul_f32 v21, v3, v21 :: v_dual_fmac_f32 v12, v33, v12
	s_delay_alu instid0(VALU_DEP_1) | instskip(SKIP_4) | instid1(VALU_DEP_3)
	v_mul_f32_e32 v21, v21, v11
	s_waitcnt_depctr 0xfff
	v_fma_f32 v33, -v29, v32, 1.0
	v_mul_f32_e32 v36, v28, v12
	v_dual_mul_f32 v3, v3, v8 :: v_dual_mul_f32 v20, v20, v21
	v_fmac_f32_e32 v32, v33, v32
	s_delay_alu instid0(VALU_DEP_3) | instskip(NEXT) | instid1(VALU_DEP_3)
	v_fma_f32 v39, -v23, v36, v28
	v_mul_f32_e32 v3, v3, v11
	s_delay_alu instid0(VALU_DEP_4) | instskip(NEXT) | instid1(VALU_DEP_3)
	v_div_scale_f32 v21, null, v24, v24, v20
	v_fmac_f32_e32 v36, v39, v12
	s_delay_alu instid0(VALU_DEP_2) | instskip(NEXT) | instid1(VALU_DEP_1)
	v_rcp_f32_e32 v37, v21
	v_fma_f32 v23, -v23, v36, v28
	s_delay_alu instid0(VALU_DEP_1)
	v_div_fmas_f32 v12, v23, v12, v36
	v_mul_f32_e32 v23, v30, v32
	s_waitcnt_depctr 0xfff
	v_fma_f32 v41, -v21, v37, 1.0
	v_fmac_f32_e32 v22, v11, v11
	v_mul_f32_e32 v18, v25, v18
	s_mov_b32 vcc_lo, s1
	v_div_fixup_f32 v12, v12, v19, v26
	v_fmac_f32_e32 v37, v41, v37
	v_mul_f32_e32 v3, v22, v3
	v_fma_f32 v22, -v31, v34, 1.0
	v_div_scale_f32 v8, null, v24, v24, v18
	v_div_scale_f32 v25, null, v19, v19, v7
	s_delay_alu instid0(VALU_DEP_4) | instskip(NEXT) | instid1(VALU_DEP_4)
	v_div_scale_f32 v38, null, v16, v16, v3
	v_fmac_f32_e32 v34, v22, v34
	v_div_scale_f32 v22, s2, v20, v24, v20
	s_delay_alu instid0(VALU_DEP_3)
	v_rcp_f32_e32 v33, v38
	v_rcp_f32_e32 v11, v8
	v_div_scale_f32 v39, s3, v3, v16, v3
	v_add_f32_e32 v6, v6, v12
	s_waitcnt_depctr 0xfff
	v_fma_f32 v28, -v38, v33, 1.0
	v_mul_f32_e32 v40, v35, v34
	v_fma_f32 v41, -v8, v11, 1.0
	s_delay_alu instid0(VALU_DEP_3) | instskip(NEXT) | instid1(VALU_DEP_3)
	v_fmac_f32_e32 v33, v28, v33
	v_fma_f32 v42, -v31, v40, v35
	s_delay_alu instid0(VALU_DEP_1) | instskip(SKIP_1) | instid1(VALU_DEP_2)
	v_dual_fmac_f32 v11, v41, v11 :: v_dual_fmac_f32 v40, v42, v34
	v_mul_f32_e32 v42, v22, v37
	v_fma_f32 v28, -v31, v40, v35
	s_delay_alu instid0(VALU_DEP_2) | instskip(NEXT) | instid1(VALU_DEP_1)
	v_fma_f32 v31, -v21, v42, v22
	v_fmac_f32_e32 v42, v31, v37
	v_mul_f32_e32 v31, v39, v33
	s_delay_alu instid0(VALU_DEP_4)
	v_div_fmas_f32 v26, v28, v34, v40
	v_fma_f32 v28, -v29, v23, v30
	s_mov_b32 vcc_lo, s2
	v_fma_f32 v21, -v21, v42, v22
	v_fma_f32 v22, -v38, v31, v39
	v_div_fixup_f32 v12, v26, v19, v27
	v_fmac_f32_e32 v23, v28, v32
	v_div_scale_f32 v27, s1, v18, v24, v18
	s_delay_alu instid0(VALU_DEP_4) | instskip(SKIP_1) | instid1(VALU_DEP_4)
	v_fmac_f32_e32 v31, v22, v33
	v_div_fmas_f32 v21, v21, v37, v42
	v_fma_f32 v29, -v29, v23, v30
	s_delay_alu instid0(VALU_DEP_4)
	v_mul_f32_e32 v22, v27, v11
	s_mov_b32 vcc_lo, s0
	v_rcp_f32_e32 v26, v25
	ds_bpermute_b32 v28, v17, v6
	v_div_fmas_f32 v23, v29, v32, v23
	v_fma_f32 v29, -v38, v31, v39
	s_mov_b32 vcc_lo, s3
	v_fma_f32 v32, -v8, v22, v27
	ds_bpermute_b32 v30, v17, v19
	v_div_fixup_f32 v15, v23, v19, v15
	v_div_fmas_f32 v29, v29, v33, v31
	s_mov_b32 vcc_lo, s1
	v_fma_f32 v34, -v25, v26, 1.0
	s_delay_alu instid0(VALU_DEP_2) | instskip(NEXT) | instid1(VALU_DEP_2)
	v_div_fixup_f32 v3, v29, v16, v3
	v_fmac_f32_e32 v26, v34, v26
	v_div_scale_f32 v34, s0, v7, v19, v7
	s_delay_alu instid0(VALU_DEP_3) | instskip(NEXT) | instid1(VALU_DEP_2)
	v_add_f32_e32 v3, v9, v3
	v_dual_fmac_f32 v22, v32, v11 :: v_dual_mul_f32 v31, v34, v26
	s_delay_alu instid0(VALU_DEP_1) | instskip(NEXT) | instid1(VALU_DEP_2)
	v_fma_f32 v8, -v8, v22, v27
	v_fma_f32 v16, -v25, v31, v34
	s_waitcnt lgkmcnt(0)
	v_sub_f32_e32 v29, v19, v30
	s_delay_alu instid0(VALU_DEP_3)
	v_div_fmas_f32 v8, v8, v11, v22
	s_mov_b32 vcc_lo, s0
	v_fmac_f32_e32 v31, v16, v26
	v_div_fixup_f32 v16, v21, v24, v20
	v_add_f32_e32 v27, v19, v30
	v_div_fixup_f32 v8, v8, v24, v18
	ds_bpermute_b32 v20, v17, v5
	v_dual_add_f32 v14, v14, v16 :: v_dual_add_f32 v3, v8, v3
	v_add_f32_e32 v8, v13, v12
	v_fma_f32 v9, -v25, v31, v34
	ds_bpermute_b32 v22, v17, v8
	v_div_fmas_f32 v9, v9, v26, v31
	v_mul_f32_e32 v26, v27, v27
	s_delay_alu instid0(VALU_DEP_2) | instskip(NEXT) | instid1(VALU_DEP_1)
	v_div_fixup_f32 v7, v9, v19, v7
	v_dual_sub_f32 v10, v28, v6 :: v_dual_add_f32 v3, v7, v3
	s_delay_alu instid0(VALU_DEP_1)
	v_mul_f32_e32 v16, v10, v10
	v_add_f32_e32 v9, v15, v14
	ds_bpermute_b32 v7, v17, v4
	v_mul_f32_e32 v34, 0x40400000, v10
	v_mul_f32_e32 v14, v10, v16
	v_mul_f32_e32 v12, v19, v16
	ds_bpermute_b32 v32, v17, v9
	ds_bpermute_b32 v17, v17, v3
	v_mul_f32_e32 v21, v19, v14
	s_delay_alu instid0(VALU_DEP_1) | instskip(NEXT) | instid1(VALU_DEP_1)
	v_mul_f32_e32 v21, v21, v30
	v_dual_mul_f32 v28, v10, v30 :: v_dual_mul_f32 v21, v29, v21
	s_delay_alu instid0(VALU_DEP_1) | instskip(NEXT) | instid1(VALU_DEP_1)
	v_div_scale_f32 v11, null, v27, v27, v28
	v_rcp_f32_e32 v18, v11
	s_waitcnt lgkmcnt(0)
	v_add_f32_e32 v3, v3, v17
	s_waitcnt_depctr 0xfff
	v_fma_f32 v13, -v11, v18, 1.0
	s_delay_alu instid0(VALU_DEP_1) | instskip(SKIP_1) | instid1(VALU_DEP_1)
	v_fmac_f32_e32 v18, v13, v18
	v_div_scale_f32 v13, vcc_lo, v28, v27, v28
	v_mul_f32_e32 v23, v13, v18
	s_delay_alu instid0(VALU_DEP_1) | instskip(NEXT) | instid1(VALU_DEP_1)
	v_fma_f32 v31, -v11, v23, v13
	v_fmac_f32_e32 v23, v31, v18
	v_div_scale_f32 v31, null, v26, v26, v21
	s_delay_alu instid0(VALU_DEP_2) | instskip(NEXT) | instid1(VALU_DEP_1)
	v_fma_f32 v11, -v11, v23, v13
	v_div_fmas_f32 v11, v11, v18, v23
	v_cmp_gt_f32_e32 vcc_lo, v4, v7
	s_delay_alu instid0(VALU_DEP_2) | instskip(SKIP_1) | instid1(VALU_DEP_2)
	v_div_fixup_f32 v11, v11, v27, v28
	v_cndmask_b32_e32 v4, v4, v7, vcc_lo
	v_dual_mul_f32 v7, v8, v30 :: v_dual_add_f32 v6, v6, v11
	v_add_f32_e32 v11, v8, v22
	s_delay_alu instid0(VALU_DEP_2) | instskip(SKIP_1) | instid1(VALU_DEP_2)
	v_fma_f32 v7, v19, v22, -v7
	v_mul_f32_e32 v12, v12, v30
	v_dual_mul_f32 v22, v24, v22 :: v_dual_mul_f32 v7, v34, v7
	s_delay_alu instid0(VALU_DEP_2) | instskip(SKIP_1) | instid1(VALU_DEP_1)
	v_div_scale_f32 v15, null, v27, v27, v12
	v_div_scale_f32 v13, s0, v12, v27, v12
	s_mov_b32 vcc_lo, s0
	s_delay_alu instid0(VALU_DEP_2) | instskip(SKIP_1) | instid1(VALU_DEP_1)
	v_rcp_f32_e32 v25, v15
	v_div_scale_f32 v34, null, v27, v27, v7
	v_rcp_f32_e32 v35, v34
	s_waitcnt_depctr 0xfff
	v_fma_f32 v29, -v15, v25, 1.0
	s_delay_alu instid0(VALU_DEP_1) | instskip(SKIP_2) | instid1(VALU_DEP_2)
	v_fmac_f32_e32 v25, v29, v25
	v_rcp_f32_e32 v29, v31
	v_dual_mul_f32 v33, v27, v26 :: v_dual_mul_f32 v16, 0x40c00000, v16
	v_mul_f32_e32 v18, v13, v25
	s_delay_alu instid0(VALU_DEP_1) | instskip(SKIP_3) | instid1(VALU_DEP_2)
	v_fma_f32 v23, -v15, v18, v13
	s_waitcnt_depctr 0xfff
	v_fma_f32 v28, -v31, v29, 1.0
	v_fmac_f32_e32 v18, v23, v25
	v_fmac_f32_e32 v29, v28, v29
	v_div_scale_f32 v23, s1, v21, v26, v21
	v_mul_f32_e32 v14, v10, v14
	s_delay_alu instid0(VALU_DEP_4) | instskip(SKIP_1) | instid1(VALU_DEP_4)
	v_fma_f32 v13, -v15, v18, v13
	v_fma_f32 v28, -v19, v30, v24
	v_mul_f32_e32 v15, v23, v29
	s_delay_alu instid0(VALU_DEP_3) | instskip(SKIP_1) | instid1(VALU_DEP_3)
	v_div_fmas_f32 v13, v13, v25, v18
	v_cmp_gt_u32_e32 vcc_lo, 4, v2
	v_fma_f32 v24, -v31, v15, v23
	v_mul_f32_e32 v18, v30, v30
	v_fmac_f32_e32 v28, v30, v30
	v_div_fixup_f32 v12, v13, v27, v12
	v_cndmask_b32_e64 v2, 0, 1, vcc_lo
	v_fmac_f32_e32 v15, v24, v29
	s_mov_b32 vcc_lo, s1
	v_fmac_f32_e32 v22, v18, v8
	v_add_f32_e32 v18, v9, v32
	v_lshlrev_b32_e32 v2, 2, v2
	v_fma_f32 v23, -v31, v15, v23
	v_fma_f32 v8, -v34, v35, 1.0
	v_mul_f32_e32 v14, v19, v14
	s_delay_alu instid0(VALU_DEP_4) | instskip(NEXT) | instid1(VALU_DEP_4)
	v_add_lshl_u32 v1, v2, v1, 2
	v_div_fmas_f32 v15, v23, v29, v15
	s_delay_alu instid0(VALU_DEP_4)
	v_fmac_f32_e32 v35, v8, v35
	v_div_scale_f32 v8, s0, v7, v27, v7
	ds_bpermute_b32 v23, v1, v6
	v_div_fixup_f32 v15, v15, v26, v21
	v_mul_f32_e32 v9, v9, v30
	ds_bpermute_b32 v29, v1, v27
	s_mov_b32 vcc_lo, s0
	v_dual_add_f32 v13, v18, v15 :: v_dual_mul_f32 v16, v16, v22
	v_fma_f32 v9, v19, v32, -v9
	s_delay_alu instid0(VALU_DEP_2) | instskip(NEXT) | instid1(VALU_DEP_1)
	v_div_scale_f32 v22, null, v26, v26, v16
	v_rcp_f32_e32 v31, v22
	s_waitcnt lgkmcnt(1)
	v_sub_f32_e32 v17, v23, v6
	v_mul_f32_e32 v10, 4.0, v10
	s_delay_alu instid0(VALU_DEP_1)
	v_mul_f32_e32 v9, v10, v9
	s_waitcnt_depctr 0xfff
	v_fma_f32 v32, -v22, v31, 1.0
	v_mul_f32_e32 v14, v14, v30
	v_mul_f32_e32 v30, v8, v35
	v_div_scale_f32 v36, null, v27, v27, v9
	s_delay_alu instid0(VALU_DEP_4) | instskip(NEXT) | instid1(VALU_DEP_4)
	v_fmac_f32_e32 v31, v32, v31
	v_mul_f32_e32 v14, v28, v14
	s_delay_alu instid0(VALU_DEP_3) | instskip(NEXT) | instid1(VALU_DEP_1)
	v_rcp_f32_e32 v32, v36
	v_div_scale_f32 v25, null, v33, v33, v14
	v_div_scale_f32 v19, s2, v14, v33, v14
	s_delay_alu instid0(VALU_DEP_2) | instskip(SKIP_2) | instid1(VALU_DEP_1)
	v_rcp_f32_e32 v28, v25
	s_waitcnt_depctr 0xfff
	v_fma_f32 v24, -v25, v28, 1.0
	v_fmac_f32_e32 v28, v24, v28
	v_fma_f32 v24, -v34, v30, v8
	s_delay_alu instid0(VALU_DEP_2) | instskip(NEXT) | instid1(VALU_DEP_2)
	v_mul_f32_e32 v10, v19, v28
	v_fmac_f32_e32 v30, v24, v35
	s_delay_alu instid0(VALU_DEP_2) | instskip(NEXT) | instid1(VALU_DEP_2)
	v_fma_f32 v24, -v25, v10, v19
	v_fma_f32 v8, -v34, v30, v8
	v_fma_f32 v34, -v36, v32, 1.0
	s_delay_alu instid0(VALU_DEP_3) | instskip(NEXT) | instid1(VALU_DEP_3)
	v_fmac_f32_e32 v10, v24, v28
	v_div_fmas_f32 v30, v8, v35, v30
	s_mov_b32 vcc_lo, s2
	s_delay_alu instid0(VALU_DEP_3) | instskip(NEXT) | instid1(VALU_DEP_3)
	v_fmac_f32_e32 v32, v34, v32
	v_fma_f32 v8, -v25, v10, v19
	s_delay_alu instid0(VALU_DEP_3)
	v_div_fixup_f32 v7, v30, v27, v7
	v_div_scale_f32 v25, s0, v9, v27, v9
	s_waitcnt lgkmcnt(0)
	v_sub_f32_e32 v30, v27, v29
	v_div_fmas_f32 v8, v8, v28, v10
	v_add_f32_e32 v7, v7, v13
	v_div_scale_f32 v2, s3, v16, v26, v16
	s_delay_alu instid0(VALU_DEP_1) | instskip(NEXT) | instid1(VALU_DEP_3)
	s_mov_b32 vcc_lo, s3
	v_div_fixup_f32 v14, v8, v33, v14
	v_add_f32_e32 v8, v27, v29
	s_delay_alu instid0(VALU_DEP_3)
	v_mul_f32_e32 v24, v2, v31
	v_mul_f32_e32 v10, v25, v32
	ds_bpermute_b32 v18, v1, v7
	v_add_f32_e32 v3, v3, v14
	v_mul_f32_e32 v21, v8, v8
	v_fma_f32 v19, -v22, v24, v2
	s_delay_alu instid0(VALU_DEP_1) | instskip(SKIP_1) | instid1(VALU_DEP_2)
	v_fmac_f32_e32 v24, v19, v31
	v_fma_f32 v19, -v36, v10, v25
	v_fma_f32 v2, -v22, v24, v2
	s_delay_alu instid0(VALU_DEP_2) | instskip(NEXT) | instid1(VALU_DEP_2)
	v_fmac_f32_e32 v10, v19, v32
	v_div_fmas_f32 v2, v2, v31, v24
	s_delay_alu instid0(VALU_DEP_2) | instskip(SKIP_1) | instid1(VALU_DEP_2)
	v_fma_f32 v14, -v36, v10, v25
	s_mov_b32 vcc_lo, s0
	v_div_fixup_f32 v2, v2, v26, v16
	s_delay_alu instid0(VALU_DEP_2) | instskip(SKIP_1) | instid1(VALU_DEP_3)
	v_div_fmas_f32 v10, v14, v32, v10
	v_cmp_lt_f32_e32 vcc_lo, v5, v20
	v_add_f32_e32 v2, v2, v3
	v_mul_f32_e32 v22, v17, v29
	s_delay_alu instid0(VALU_DEP_4)
	v_div_fixup_f32 v3, v10, v27, v9
	v_cndmask_b32_e32 v5, v5, v20, vcc_lo
	v_add_f32_e32 v10, v11, v12
	ds_bpermute_b32 v11, v1, v4
	v_div_scale_f32 v19, null, v8, v8, v22
	v_dual_add_f32 v2, v3, v2 :: v_dual_mul_f32 v3, v17, v17
	ds_bpermute_b32 v14, v1, v10
	v_rcp_f32_e32 v16, v19
	ds_bpermute_b32 v13, v1, v5
	v_mul_f32_e32 v12, v27, v3
	v_mul_f32_e32 v20, v17, v3
	;; [unrolled: 1-line block ×3, first 2 shown]
	ds_bpermute_b32 v1, v1, v2
	v_mul_f32_e32 v25, v27, v20
	v_fma_f32 v9, -v19, v16, 1.0
	s_waitcnt lgkmcnt(3)
	v_cmp_gt_f32_e64 s0, v4, v11
	s_delay_alu instid0(VALU_DEP_2) | instskip(SKIP_2) | instid1(VALU_DEP_2)
	v_fmac_f32_e32 v16, v9, v16
	v_div_scale_f32 v9, vcc_lo, v22, v8, v22
	v_mul_f32_e32 v25, v25, v29
	v_mul_f32_e32 v15, v9, v16
	s_delay_alu instid0(VALU_DEP_1) | instskip(SKIP_2) | instid1(VALU_DEP_2)
	v_fma_f32 v23, -v19, v15, v9
	s_waitcnt lgkmcnt(0)
	v_add_f32_e32 v1, v2, v1
	v_fmac_f32_e32 v15, v23, v16
	s_delay_alu instid0(VALU_DEP_1) | instskip(SKIP_3) | instid1(VALU_DEP_4)
	v_fma_f32 v19, -v19, v15, v9
	v_cndmask_b32_e64 v9, v4, v11, s0
	v_mul_f32_e32 v4, v30, v25
	v_mul_f32_e32 v25, 0x40400000, v17
	v_div_fmas_f32 v11, v19, v16, v15
	v_mul_f32_e32 v15, v10, v29
	s_delay_alu instid0(VALU_DEP_1) | instskip(NEXT) | instid1(VALU_DEP_1)
	v_fma_f32 v15, v27, v14, -v15
	v_mul_f32_e32 v15, v25, v15
	v_fma_f32 v25, -v27, v29, v26
	v_mul_f32_e32 v26, v26, v14
	v_div_fixup_f32 v11, v11, v8, v22
	s_delay_alu instid0(VALU_DEP_4) | instskip(NEXT) | instid1(VALU_DEP_4)
	v_div_scale_f32 v32, null, v8, v8, v15
	v_fmac_f32_e32 v25, v29, v29
	s_delay_alu instid0(VALU_DEP_3) | instskip(NEXT) | instid1(VALU_DEP_3)
	v_add_f32_e32 v11, v6, v11
	v_rcp_f32_e32 v34, v32
	s_waitcnt_depctr 0xfff
	v_fma_f32 v35, -v32, v34, 1.0
	s_delay_alu instid0(VALU_DEP_1) | instskip(SKIP_3) | instid1(VALU_DEP_3)
	v_fmac_f32_e32 v34, v35, v34
	v_dual_mul_f32 v20, v17, v20 :: v_dual_mul_f32 v17, 4.0, v17
	v_mul_f32_e32 v12, v12, v29
	v_div_scale_f32 v35, s1, v15, v8, v15
	v_mul_f32_e32 v20, v27, v20
	v_mul_f32_e32 v28, v8, v21
	s_delay_alu instid0(VALU_DEP_4) | instskip(NEXT) | instid1(VALU_DEP_3)
	v_div_scale_f32 v24, null, v8, v8, v12
	v_mul_f32_e32 v20, v20, v29
	s_delay_alu instid0(VALU_DEP_2) | instskip(NEXT) | instid1(VALU_DEP_1)
	v_rcp_f32_e32 v23, v24
	v_mul_f32_e32 v20, v25, v20
	v_mul_f32_e32 v25, v29, v29
	v_mul_f32_e32 v29, v7, v29
	v_add_f32_e32 v7, v7, v18
	v_div_scale_f32 v19, null, v21, v21, v4
	s_delay_alu instid0(VALU_DEP_4) | instskip(NEXT) | instid1(TRANS32_DEP_1)
	v_fmac_f32_e32 v26, v25, v10
	v_fma_f32 v16, -v24, v23, 1.0
	v_fma_f32 v27, v27, v18, -v29
	s_delay_alu instid0(VALU_DEP_4)
	v_rcp_f32_e32 v30, v19
	v_mul_f32_e32 v29, v35, v34
	v_mul_f32_e32 v3, v3, v26
	v_fmac_f32_e32 v23, v16, v23
	v_div_scale_f32 v16, vcc_lo, v12, v8, v12
	v_div_scale_f32 v25, s0, v4, v21, v4
	s_delay_alu instid0(VALU_DEP_4) | instskip(NEXT) | instid1(TRANS32_DEP_1)
	v_div_scale_f32 v26, null, v21, v21, v3
	v_fma_f32 v33, -v19, v30, 1.0
	s_delay_alu instid0(VALU_DEP_4) | instskip(SKIP_1) | instid1(VALU_DEP_4)
	v_mul_f32_e32 v31, v16, v23
	v_mul_f32_e32 v17, v17, v27
	v_rcp_f32_e32 v38, v26
	v_div_scale_f32 v27, s2, v20, v28, v20
	v_fmac_f32_e32 v30, v33, v30
	v_div_scale_f32 v33, null, v28, v28, v20
	v_fma_f32 v22, -v24, v31, v16
	v_div_scale_f32 v39, null, v8, v8, v17
	s_delay_alu instid0(VALU_DEP_3) | instskip(SKIP_1) | instid1(VALU_DEP_3)
	v_rcp_f32_e32 v36, v33
	v_div_scale_f32 v41, s3, v3, v21, v3
	v_dual_fmac_f32 v31, v22, v23 :: v_dual_mul_f32 v22, v25, v30
	v_add_f32_e32 v14, v10, v14
	s_delay_alu instid0(VALU_DEP_2) | instskip(NEXT) | instid1(VALU_DEP_3)
	v_fma_f32 v16, -v24, v31, v16
	v_fma_f32 v24, -v19, v22, v25
	s_waitcnt_depctr 0xfff
	v_fma_f32 v37, -v33, v36, 1.0
	v_div_fmas_f32 v16, v16, v23, v31
	v_fmac_f32_e32 v22, v24, v30
	s_delay_alu instid0(VALU_DEP_3)
	v_fmac_f32_e32 v36, v37, v36
	v_fma_f32 v37, -v26, v38, 1.0
	v_fma_f32 v24, -v32, v29, v35
	s_mov_b32 vcc_lo, s0
	v_fma_f32 v19, -v19, v22, v25
	v_mul_f32_e32 v40, v27, v36
	v_fmac_f32_e32 v38, v37, v38
	v_rcp_f32_e32 v37, v39
	v_fmac_f32_e32 v29, v24, v34
	v_div_fmas_f32 v19, v19, v30, v22
	v_fma_f32 v23, -v33, v40, v27
	v_mul_f32_e32 v24, v41, v38
	s_mov_b32 vcc_lo, s1
	v_fma_f32 v22, -v32, v29, v35
	v_div_fixup_f32 v4, v19, v21, v4
	v_fmac_f32_e32 v40, v23, v36
	v_fma_f32 v23, -v26, v24, v41
	v_fma_f32 v25, -v39, v37, 1.0
	v_div_fmas_f32 v22, v22, v34, v29
	s_mov_b32 vcc_lo, s2
	v_fma_f32 v27, -v33, v40, v27
	s_delay_alu instid0(VALU_DEP_3) | instskip(SKIP_1) | instid1(VALU_DEP_3)
	v_dual_fmac_f32 v24, v23, v38 :: v_dual_fmac_f32 v37, v25, v37
	v_div_scale_f32 v25, s0, v17, v8, v17
	v_div_fmas_f32 v23, v27, v36, v40
	s_delay_alu instid0(VALU_DEP_3) | instskip(SKIP_1) | instid1(VALU_DEP_3)
	v_fma_f32 v2, -v26, v24, v41
	s_mov_b32 vcc_lo, s3
	v_mul_f32_e32 v29, v25, v37
	v_div_fixup_f32 v12, v16, v8, v12
	v_add_f32_e32 v4, v7, v4
	v_div_fmas_f32 v2, v2, v38, v24
	s_mov_b32 vcc_lo, s0
	v_fma_f32 v27, -v39, v29, v25
	v_div_fixup_f32 v7, v22, v8, v15
	v_add_f32_e32 v12, v14, v12
	v_div_fixup_f32 v2, v2, v21, v3
	s_delay_alu instid0(VALU_DEP_4) | instskip(SKIP_1) | instid1(VALU_DEP_2)
	v_fmac_f32_e32 v29, v27, v37
	v_div_fixup_f32 v10, v23, v28, v20
	v_fma_f32 v18, -v39, v29, v25
	s_delay_alu instid0(VALU_DEP_2) | instskip(NEXT) | instid1(VALU_DEP_2)
	v_add_f32_e32 v1, v1, v10
	v_div_fmas_f32 v3, v18, v37, v29
	s_delay_alu instid0(VALU_DEP_2) | instskip(SKIP_1) | instid1(VALU_DEP_3)
	v_add_f32_e32 v1, v2, v1
	v_cmp_lt_f32_e32 vcc_lo, v5, v13
	v_div_fixup_f32 v2, v3, v8, v17
	v_dual_cndmask_b32 v10, v5, v13 :: v_dual_add_f32 v13, v7, v4
	s_delay_alu instid0(VALU_DEP_2)
	v_add_f32_e32 v14, v2, v1
.LBB34_8:
	s_or_b32 exec_lo, exec_lo, s4
	s_branch .LBB34_54
.LBB34_9:
	s_mov_b32 s19, 0
                                        ; implicit-def: $vgpr7
                                        ; implicit-def: $vgpr4
	s_cbranch_execnz .LBB34_93
	s_branch .LBB34_101
.LBB34_10:
	s_mov_b32 s7, -1
.LBB34_11:
	s_mov_b32 s19, 0
                                        ; implicit-def: $vgpr7
                                        ; implicit-def: $vgpr4
	s_and_b32 vcc_lo, exec_lo, s7
	s_cbranch_vccz .LBB34_59
.LBB34_12:
	s_cmp_eq_u32 s28, 2
	s_cbranch_scc0 .LBB34_19
; %bb.13:
	s_mov_b32 s21, 0
	s_lshl_b32 s24, s20, 9
	s_mov_b32 s25, s21
	s_lshr_b64 s[2:3], s[8:9], 9
	s_lshl_b64 s[0:1], s[24:25], 2
	s_delay_alu instid0(SALU_CYCLE_1)
	s_add_u32 s6, s22, s0
	s_addc_u32 s7, s23, s1
	s_cmp_lg_u64 s[2:3], s[20:21]
	s_cbranch_scc0 .LBB34_60
; %bb.14:
	s_waitcnt lgkmcnt(4)
	v_lshlrev_b32_e32 v1, 2, v0
	s_clause 0x1
	global_load_b32 v9, v1, s[6:7]
	global_load_b32 v10, v1, s[6:7] offset:1024
	v_mov_b32_e32 v1, 2.0
	s_delay_alu instid0(VALU_DEP_1) | instskip(NEXT) | instid1(VALU_DEP_1)
	v_mov_b32_dpp v6, v1 quad_perm:[1,0,3,2] row_mask:0xf bank_mask:0xf
	v_mul_f32_e32 v24, v6, v6
	v_add_f32_e32 v1, 2.0, v6
	v_add_f32_e32 v26, -2.0, v6
	s_delay_alu instid0(VALU_DEP_3) | instskip(NEXT) | instid1(VALU_DEP_3)
	v_fma_f32 v8, -2.0, v6, v24
	v_mov_b32_dpp v7, v1 quad_perm:[2,3,0,1] row_mask:0xf bank_mask:0xf
	s_delay_alu instid0(VALU_DEP_1) | instskip(NEXT) | instid1(VALU_DEP_1)
	v_add_f32_e32 v2, v1, v7
	v_mov_b32_dpp v11, v2 row_ror:4 row_mask:0xf bank_mask:0xf
	s_waitcnt lgkmcnt(0)
	s_delay_alu instid0(VALU_DEP_1) | instskip(NEXT) | instid1(VALU_DEP_1)
	v_add_f32_e32 v4, v2, v11
	v_mov_b32_dpp v13, v4 row_ror:8 row_mask:0xf bank_mask:0xf
	s_delay_alu instid0(VALU_DEP_1)
	v_add_f32_e32 v3, v4, v13
	v_mul_f32_e32 v20, v13, v13
	v_mul_f32_e32 v25, v1, v1
	v_mov_b32_e32 v5, 0
	v_dual_mul_f32 v27, v7, v7 :: v_dual_mul_f32 v30, v2, v2
	ds_swizzle_b32 v12, v3 offset:swizzle(BROADCAST,32,15)
	v_dual_mul_f32 v28, v1, v25 :: v_dual_add_f32 v29, 4.0, v8
	v_fma_f32 v32, -v1, v7, v27
	v_dual_mul_f32 v34, v2, v30 :: v_dual_mul_f32 v31, v11, v11
	v_sub_f32_e32 v33, v7, v1
	v_dual_mul_f32 v21, v4, v4 :: v_dual_sub_f32 v36, v11, v2
	s_delay_alu instid0(VALU_DEP_4) | instskip(NEXT) | instid1(VALU_DEP_4)
	v_fmac_f32_e32 v32, v1, v1
	v_fma_f32 v35, -v2, v11, v31
	s_delay_alu instid0(VALU_DEP_3) | instskip(SKIP_1) | instid1(VALU_DEP_3)
	v_dual_sub_f32 v38, v13, v4 :: v_dual_mul_f32 v23, v4, v21
	v_fma_f32 v37, -v4, v13, v20
	v_fmac_f32_e32 v35, v2, v2
	s_delay_alu instid0(VALU_DEP_2) | instskip(SKIP_4) | instid1(VALU_DEP_3)
	v_fmac_f32_e32 v37, v4, v4
	s_waitcnt lgkmcnt(0)
	v_mul_f32_e32 v18, v12, v12
	v_add_f32_e32 v8, v3, v12
	v_mul_f32_e32 v19, v3, v3
	v_fma_f32 v16, -v3, v12, v18
	s_delay_alu instid0(VALU_DEP_3) | instskip(NEXT) | instid1(VALU_DEP_3)
	v_mul_f32_e32 v14, v8, v8
	v_mul_f32_e32 v22, v3, v19
	s_delay_alu instid0(VALU_DEP_2)
	v_dual_fmac_f32 v16, v3, v3 :: v_dual_mul_f32 v15, v8, v14
	s_waitcnt vmcnt(0)
	v_cmp_lt_f32_e32 vcc_lo, v10, v9
	v_dual_sub_f32 v17, v12, v3 :: v_dual_cndmask_b32 v40, v9, v10
	v_cmp_lt_f32_e32 vcc_lo, v9, v10
	v_sub_f32_e32 v39, v10, v9
	s_delay_alu instid0(VALU_DEP_3) | instskip(SKIP_1) | instid1(VALU_DEP_3)
	v_mov_b32_dpp v44, v40 quad_perm:[1,0,3,2] row_mask:0xf bank_mask:0xf
	v_cndmask_b32_e32 v10, v9, v10, vcc_lo
	v_mul_f32_e32 v42, 0x40400000, v39
	v_mul_f32_e32 v41, v39, v39
	s_delay_alu instid0(VALU_DEP_4) | instskip(NEXT) | instid1(VALU_DEP_4)
	v_cmp_lt_f32_e32 vcc_lo, v40, v44
	v_mov_b32_dpp v45, v10 quad_perm:[1,0,3,2] row_mask:0xf bank_mask:0xf
	s_delay_alu instid0(VALU_DEP_4) | instskip(NEXT) | instid1(VALU_DEP_4)
	v_dual_mul_f32 v42, 0, v42 :: v_dual_mul_f32 v43, 4.0, v39
	v_dual_mul_f32 v48, 0x40c00000, v41 :: v_dual_fmac_f32 v9, 0.5, v39
	v_mul_f32_e32 v46, v39, v41
	s_delay_alu instid0(VALU_DEP_3)
	v_dual_cndmask_b32 v40, v44, v40 :: v_dual_mul_f32 v43, 0, v43
	v_cmp_gt_f32_e32 vcc_lo, v10, v45
	v_mul_f32_e32 v47, 0.5, v41
	v_mov_b32_dpp v49, v9 quad_perm:[1,0,3,2] row_mask:0xf bank_mask:0xf
	v_mul_f32_e32 v44, 0, v46
	v_dual_cndmask_b32 v10, v45, v10 :: v_dual_mul_f32 v45, 0, v48
	v_mov_b32_dpp v48, v40 quad_perm:[2,3,0,1] row_mask:0xf bank_mask:0xf
	s_delay_alu instid0(VALU_DEP_4)
	v_sub_f32_e32 v9, v9, v49
	v_mul_f32_e32 v39, v39, v46
	v_mov_b32_dpp v46, v47 quad_perm:[1,0,3,2] row_mask:0xf bank_mask:0xf
	v_mov_b32_dpp v50, v10 quad_perm:[2,3,0,1] row_mask:0xf bank_mask:0xf
	v_cmp_lt_f32_e32 vcc_lo, v40, v48
	v_add_f32_e32 v52, v9, v9
	v_fma_f32 v44, 0x3e800000, v44, 0
	v_dual_fmamk_f32 v39, v39, 0x3e000000, v5 :: v_dual_add_f32 v54, v46, v46
	v_mul_f32_e32 v51, v9, v9
	v_fma_f32 v41, 0.5, v41, v46
	v_dual_mul_f32 v46, 4.0, v46 :: v_dual_mul_f32 v53, 0x40400000, v9
	v_cndmask_b32_e32 v40, v48, v40, vcc_lo
	v_cmp_gt_f32_e32 vcc_lo, v10, v50
	v_dual_mul_f32 v55, 4.0, v9 :: v_dual_fmac_f32 v44, 0.5, v42
	v_fmac_f32_e32 v39, 0x3e800000, v45
	v_div_scale_f32 v45, null, v1, v1, v52
	v_cndmask_b32_e32 v10, v50, v10, vcc_lo
	s_delay_alu instid0(VALU_DEP_3)
	v_dual_fmac_f32 v46, v47, v24 :: v_dual_fmac_f32 v39, 0.5, v43
	v_mov_b32_dpp v24, v40 row_ror:4 row_mask:0xf bank_mask:0xf
	v_mul_f32_e32 v50, v51, v6
	v_fma_f32 v54, v47, v6, -v54
	v_mov_b32_dpp v47, v10 row_ror:4 row_mask:0xf bank_mask:0xf
	v_rcp_f32_e32 v56, v45
	v_cmp_lt_f32_e64 s0, v40, v24
	v_mov_b32_dpp v43, v44 quad_perm:[1,0,3,2] row_mask:0xf bank_mask:0xf
	v_div_scale_f32 v48, vcc_lo, v52, v1, v52
	s_delay_alu instid0(VALU_DEP_3) | instskip(SKIP_4) | instid1(VALU_DEP_4)
	v_cndmask_b32_e64 v24, v24, v40, s0
	v_cmp_gt_f32_e64 s0, v10, v47
	v_mov_b32_dpp v40, v39 quad_perm:[1,0,3,2] row_mask:0xf bank_mask:0xf
	v_mul_f32_e32 v42, v9, v51
	v_dual_mul_f32 v51, 0x40c00000, v51 :: v_dual_add_f32 v50, v50, v50
	v_cndmask_b32_e64 v10, v47, v10, s0
	v_mov_b32_dpp v61, v24 row_ror:8 row_mask:0xf bank_mask:0xf
	v_fma_f32 v63, -v45, v56, 1.0
	v_dual_mul_f32 v53, v53, v54 :: v_dual_add_f32 v54, v44, v43
	v_add_f32_e32 v43, v43, v43
	v_div_scale_f32 v47, null, v1, v1, v50
	s_delay_alu instid0(VALU_DEP_4)
	v_fmac_f32_e32 v56, v63, v56
	v_add_f32_e32 v39, v39, v40
	v_mul_f32_e32 v9, v9, v42
	v_mov_b32_dpp v62, v10 row_ror:8 row_mask:0xf bank_mask:0xf
	v_rcp_f32_e32 v64, v47
	v_cmp_lt_f32_e64 s3, v24, v61
	v_fma_f32 v43, v44, v6, -v43
	v_mul_f32_e32 v9, v9, v6
	v_mul_f32_e32 v42, v42, v6
	v_div_scale_f32 v57, null, v1, v1, v53
	v_cndmask_b32_e64 v24, v61, v24, s3
	v_cmp_gt_f32_e64 s3, v10, v62
	v_mul_f32_e32 v43, v55, v43
	v_mul_f32_e32 v61, v48, v56
	v_div_scale_f32 v58, s1, v53, v1, v53
	s_delay_alu instid0(VALU_DEP_4) | instskip(SKIP_4) | instid1(VALU_DEP_4)
	v_cndmask_b32_e64 v6, v62, v10, s3
	v_fma_f32 v62, -v47, v64, 1.0
	v_div_scale_f32 v69, null, v1, v1, v43
	v_fma_f32 v71, -v45, v61, v48
	v_div_scale_f32 v70, s5, v43, v1, v43
	v_dual_fmac_f32 v64, v62, v64 :: v_dual_add_f32 v9, v9, v9
	v_add_f32_e32 v42, v42, v42
	v_mul_f32_e32 v46, v51, v46
	v_div_scale_f32 v51, s0, v50, v1, v50
	s_delay_alu instid0(VALU_DEP_3) | instskip(SKIP_1) | instid1(VALU_DEP_3)
	v_dual_mul_f32 v29, v29, v9 :: v_dual_mul_f32 v26, v26, v42
	v_rcp_f32_e32 v42, v57
	v_div_scale_f32 v59, null, v25, v25, v46
	v_fmac_f32_e32 v61, v71, v56
	s_delay_alu instid0(VALU_DEP_3) | instskip(NEXT) | instid1(VALU_DEP_3)
	v_div_scale_f32 v10, null, v25, v25, v26
	v_rcp_f32_e32 v40, v59
	v_div_scale_f32 v60, s2, v46, v25, v46
	s_delay_alu instid0(VALU_DEP_2) | instskip(NEXT) | instid1(TRANS32_DEP_3)
	v_rcp_f32_e32 v63, v10
	v_fma_f32 v65, -v57, v42, 1.0
	v_fma_f32 v45, -v45, v61, v48
	v_div_scale_f32 v44, s3, v26, v25, v26
	v_div_scale_f32 v66, null, v28, v28, v29
	s_delay_alu instid0(VALU_DEP_4) | instskip(SKIP_1) | instid1(TRANS32_DEP_3)
	v_fmac_f32_e32 v42, v65, v42
	v_rcp_f32_e32 v65, v69
	v_fma_f32 v68, -v59, v40, 1.0
	s_delay_alu instid0(TRANS32_DEP_2) | instskip(SKIP_3) | instid1(VALU_DEP_3)
	v_fma_f32 v71, -v10, v63, 1.0
	v_div_fmas_f32 v45, v45, v56, v61
	v_rcp_f32_e32 v62, v66
	v_div_scale_f32 v67, s4, v29, v28, v29
	v_dual_fmac_f32 v40, v68, v40 :: v_dual_fmac_f32 v63, v71, v63
	v_mul_f32_e32 v72, v58, v42
	s_delay_alu instid0(TRANS32_DEP_2) | instskip(SKIP_1) | instid1(VALU_DEP_4)
	v_fma_f32 v76, -v69, v65, 1.0
	v_mul_f32_e32 v68, v51, v64
	v_mul_f32_e32 v73, v60, v40
	v_div_fixup_f32 v45, v45, v1, v52
	s_delay_alu instid0(TRANS32_DEP_1)
	v_fma_f32 v74, -v66, v62, 1.0
	v_fmac_f32_e32 v65, v76, v65
	v_fma_f32 v48, -v47, v68, v51
	v_fma_f32 v75, -v59, v73, v60
	v_add_f32_e32 v45, v45, v49
	s_mov_b32 vcc_lo, s0
	v_fma_f32 v71, -v57, v72, v58
	v_fmac_f32_e32 v68, v48, v64
	v_dual_mul_f32 v48, v44, v63 :: v_dual_fmac_f32 v73, v75, v40
	ds_swizzle_b32 v55, v24 offset:swizzle(BROADCAST,32,15)
	ds_swizzle_b32 v9, v6 offset:swizzle(BROADCAST,32,15)
	v_fma_f32 v47, -v47, v68, v51
	v_fma_f32 v51, -v10, v48, v44
	s_delay_alu instid0(VALU_DEP_2) | instskip(NEXT) | instid1(VALU_DEP_2)
	v_div_fmas_f32 v47, v47, v64, v68
	v_fmac_f32_e32 v48, v51, v63
	s_mov_b32 vcc_lo, s3
	s_delay_alu instid0(VALU_DEP_2) | instskip(NEXT) | instid1(VALU_DEP_2)
	v_div_fixup_f32 v47, v47, v1, v50
	v_fma_f32 v10, -v10, v48, v44
	v_mov_b32_dpp v44, v45 quad_perm:[2,3,0,1] row_mask:0xf bank_mask:0xf
	v_fmac_f32_e32 v62, v74, v62
	s_delay_alu instid0(VALU_DEP_4) | instskip(NEXT) | instid1(VALU_DEP_2)
	v_dual_fmac_f32 v72, v71, v42 :: v_dual_add_f32 v41, v41, v47
	v_dual_sub_f32 v45, v45, v44 :: v_dual_mul_f32 v56, v67, v62
	s_delay_alu instid0(VALU_DEP_2) | instskip(SKIP_1) | instid1(VALU_DEP_3)
	v_fma_f32 v52, -v57, v72, v58
	v_fma_f32 v57, -v59, v73, v60
	v_mul_f32_e32 v49, v45, v45
	s_delay_alu instid0(VALU_DEP_4) | instskip(NEXT) | instid1(VALU_DEP_1)
	v_fma_f32 v51, -v66, v56, v67
	v_dual_fmac_f32 v56, v51, v62 :: v_dual_mul_f32 v51, 0x40400000, v45
	v_div_fmas_f32 v10, v10, v63, v48
	s_mov_b32 vcc_lo, s1
	s_delay_alu instid0(VALU_DEP_2) | instskip(SKIP_3) | instid1(VALU_DEP_3)
	v_fma_f32 v47, -v66, v56, v67
	v_div_fmas_f32 v42, v52, v42, v72
	s_mov_b32 vcc_lo, s4
	v_div_fixup_f32 v10, v10, v25, v26
	v_div_fmas_f32 v26, v47, v62, v56
	v_mov_b32_dpp v47, v41 quad_perm:[2,3,0,1] row_mask:0xf bank_mask:0xf
	v_mul_f32_e32 v58, v70, v65
	s_mov_b32 vcc_lo, s2
	v_div_fixup_f32 v42, v42, v1, v53
	v_div_fmas_f32 v40, v57, v40, v73
	v_mul_f32_e32 v57, v1, v47
	v_fma_f32 v59, -v69, v58, v70
	v_div_fixup_f32 v26, v26, v28, v29
	v_mul_f32_e32 v28, v45, v49
	v_mul_f32_e32 v52, 4.0, v45
	s_mov_b32 vcc_lo, s5
	v_fmac_f32_e32 v58, v59, v65
	s_delay_alu instid0(VALU_DEP_3) | instskip(SKIP_3) | instid1(VALU_DEP_4)
	v_dual_add_f32 v26, v39, v26 :: v_dual_mul_f32 v39, v45, v28
	v_mul_f32_e32 v50, v1, v45
	v_fma_f32 v45, v41, v7, -v57
	v_dual_mul_f32 v56, v49, v7 :: v_dual_mul_f32 v49, 0x40c00000, v49
	v_mul_f32_e32 v39, v39, v7
	s_delay_alu instid0(VALU_DEP_4) | instskip(NEXT) | instid1(VALU_DEP_4)
	v_div_scale_f32 v29, null, v2, v2, v50
	v_dual_mul_f32 v45, v51, v45 :: v_dual_add_f32 v10, v54, v10
	v_add_f32_e32 v54, v41, v47
	v_mul_f32_e32 v47, v25, v47
	v_fma_f32 v48, -v69, v58, v70
	v_div_fixup_f32 v25, v40, v25, v46
	v_mul_f32_e32 v39, v1, v39
	s_delay_alu instid0(VALU_DEP_4) | instskip(NEXT) | instid1(VALU_DEP_4)
	v_dual_mul_f32 v28, v28, v7 :: v_dual_fmac_f32 v47, v27, v41
	v_div_fmas_f32 v48, v48, v65, v58
	s_delay_alu instid0(VALU_DEP_4) | instskip(SKIP_1) | instid1(VALU_DEP_4)
	v_add_f32_e32 v25, v25, v26
	v_div_scale_f32 v53, vcc_lo, v50, v2, v50
	v_mul_f32_e32 v28, v1, v28
	s_delay_alu instid0(VALU_DEP_4) | instskip(SKIP_3) | instid1(VALU_DEP_3)
	v_div_fixup_f32 v40, v48, v1, v43
	v_dual_mul_f32 v43, v1, v56 :: v_dual_add_f32 v10, v42, v10
	v_rcp_f32_e32 v42, v29
	v_mul_f32_e32 v32, v32, v39
	v_add_f32_e32 v25, v40, v25
	s_delay_alu instid0(VALU_DEP_3) | instskip(SKIP_3) | instid1(TRANS32_DEP_1)
	v_div_scale_f32 v27, null, v2, v2, v43
	v_mov_b32_dpp v26, v10 quad_perm:[2,3,0,1] row_mask:0xf bank_mask:0xf
	v_div_scale_f32 v41, s0, v43, v2, v43
	v_div_scale_f32 v60, s4, v32, v34, v32
	v_fma_f32 v40, -v29, v42, 1.0
	s_delay_alu instid0(VALU_DEP_4) | instskip(NEXT) | instid1(VALU_DEP_2)
	v_mul_f32_e32 v1, v1, v26
	v_fmac_f32_e32 v42, v40, v42
	s_delay_alu instid0(VALU_DEP_2) | instskip(NEXT) | instid1(VALU_DEP_2)
	v_fma_f32 v1, v10, v7, -v1
	v_mul_f32_e32 v7, v53, v42
	s_delay_alu instid0(VALU_DEP_2) | instskip(NEXT) | instid1(VALU_DEP_2)
	v_mul_f32_e32 v1, v52, v1
	v_fma_f32 v52, -v29, v7, v53
	v_mul_f32_e32 v46, v49, v47
	v_rcp_f32_e32 v47, v27
	s_delay_alu instid0(VALU_DEP_3) | instskip(NEXT) | instid1(VALU_DEP_3)
	v_div_scale_f32 v63, null, v2, v2, v1
	v_fmac_f32_e32 v7, v52, v42
	s_delay_alu instid0(VALU_DEP_3) | instskip(SKIP_1) | instid1(VALU_DEP_3)
	v_div_scale_f32 v51, null, v30, v30, v46
	v_div_scale_f32 v49, s1, v45, v2, v45
	v_fma_f32 v29, -v29, v7, v53
	s_delay_alu instid0(VALU_DEP_3) | instskip(SKIP_2) | instid1(VALU_DEP_3)
	v_rcp_f32_e32 v39, v51
	v_div_scale_f32 v56, s2, v46, v30, v46
	v_div_scale_f32 v64, s5, v1, v2, v1
	v_div_fmas_f32 v7, v29, v42, v7
	s_mov_b32 vcc_lo, s0
	s_waitcnt_depctr 0xfff
	v_fma_f32 v62, -v51, v39, 1.0
	v_mul_f32_e32 v28, v33, v28
	v_div_scale_f32 v33, null, v2, v2, v45
	v_div_fixup_f32 v7, v7, v2, v50
	s_delay_alu instid0(VALU_DEP_4) | instskip(NEXT) | instid1(VALU_DEP_4)
	v_fmac_f32_e32 v39, v62, v39
	v_div_scale_f32 v40, null, v30, v30, v28
	s_delay_alu instid0(VALU_DEP_4) | instskip(NEXT) | instid1(VALU_DEP_3)
	v_rcp_f32_e32 v58, v33
	v_add_f32_e32 v7, v7, v44
	v_div_scale_f32 v57, s3, v28, v30, v28
	s_delay_alu instid0(VALU_DEP_3)
	v_rcp_f32_e32 v59, v40
	v_mul_f32_e32 v66, v56, v39
	s_waitcnt_depctr 0xfff
	v_fma_f32 v65, -v40, v59, 1.0
	v_add_f32_e32 v48, v10, v26
	v_fma_f32 v10, -v27, v47, 1.0
	v_mov_b32_dpp v26, v25 quad_perm:[2,3,0,1] row_mask:0xf bank_mask:0xf
	s_delay_alu instid0(VALU_DEP_4) | instskip(NEXT) | instid1(VALU_DEP_3)
	v_fmac_f32_e32 v59, v65, v59
	v_fmac_f32_e32 v47, v10, v47
	s_delay_alu instid0(VALU_DEP_3) | instskip(SKIP_2) | instid1(VALU_DEP_4)
	v_add_f32_e32 v25, v25, v26
	v_div_scale_f32 v26, null, v34, v34, v32
	v_fma_f32 v10, -v33, v58, 1.0
	v_mul_f32_e32 v52, v41, v47
	v_mul_f32_e32 v29, v57, v59
	s_delay_alu instid0(VALU_DEP_4) | instskip(NEXT) | instid1(VALU_DEP_2)
	v_rcp_f32_e32 v61, v26
	v_fma_f32 v53, -v27, v52, v41
	s_delay_alu instid0(VALU_DEP_1)
	v_fmac_f32_e32 v52, v53, v47
	v_fma_f32 v53, -v51, v66, v56
	s_waitcnt_depctr 0xfff
	v_fma_f32 v65, -v26, v61, 1.0
	v_fmac_f32_e32 v58, v10, v58
	v_rcp_f32_e32 v10, v63
	v_fma_f32 v27, -v27, v52, v41
	v_fma_f32 v41, -v40, v29, v57
	v_fmac_f32_e32 v61, v65, v61
	s_delay_alu instid0(VALU_DEP_3) | instskip(NEXT) | instid1(VALU_DEP_3)
	v_div_fmas_f32 v27, v27, v47, v52
	v_fmac_f32_e32 v29, v41, v59
	s_mov_b32 vcc_lo, s3
	s_waitcnt_depctr 0xfff
	v_fma_f32 v65, -v63, v10, 1.0
	v_div_fixup_f32 v27, v27, v2, v43
	v_mul_f32_e32 v62, v49, v58
	v_mov_b32_dpp v43, v7 row_ror:4 row_mask:0xf bank_mask:0xf
	v_fma_f32 v40, -v40, v29, v57
	s_delay_alu instid0(VALU_DEP_4) | instskip(NEXT) | instid1(VALU_DEP_4)
	v_dual_fmac_f32 v10, v65, v10 :: v_dual_add_f32 v27, v54, v27
	v_fma_f32 v42, -v33, v62, v49
	s_delay_alu instid0(VALU_DEP_4) | instskip(NEXT) | instid1(VALU_DEP_4)
	v_sub_f32_e32 v7, v7, v43
	v_div_fmas_f32 v29, v40, v59, v29
	s_delay_alu instid0(VALU_DEP_4)
	v_mul_f32_e32 v44, v64, v10
	v_mov_b32_dpp v40, v27 row_ror:4 row_mask:0xf bank_mask:0xf
	v_fmac_f32_e32 v62, v42, v58
	v_mul_f32_e32 v42, v60, v61
	v_fmac_f32_e32 v66, v53, v39
	s_mov_b32 vcc_lo, s1
	v_div_fixup_f32 v28, v29, v30, v28
	v_fma_f32 v33, -v33, v62, v49
	v_fma_f32 v41, -v26, v42, v60
	v_mul_f32_e32 v49, 0x40400000, v7
	v_fma_f32 v47, -v51, v66, v56
	s_delay_alu instid0(VALU_DEP_4) | instskip(NEXT) | instid1(VALU_DEP_4)
	v_div_fmas_f32 v33, v33, v58, v62
	v_fmac_f32_e32 v42, v41, v61
	v_fma_f32 v41, -v63, v44, v64
	s_mov_b32 vcc_lo, s4
	s_delay_alu instid0(VALU_DEP_3) | instskip(NEXT) | instid1(VALU_DEP_3)
	v_div_fixup_f32 v33, v33, v2, v45
	v_fma_f32 v26, -v26, v42, v60
	s_delay_alu instid0(VALU_DEP_3) | instskip(SKIP_1) | instid1(VALU_DEP_3)
	v_dual_fmac_f32 v44, v41, v10 :: v_dual_mul_f32 v41, v7, v7
	v_add_f32_e32 v28, v48, v28
	v_div_fmas_f32 v26, v26, v61, v42
	s_delay_alu instid0(VALU_DEP_3) | instskip(NEXT) | instid1(VALU_DEP_4)
	v_fma_f32 v29, -v63, v44, v64
	v_mul_f32_e32 v45, v41, v11
	s_mov_b32 vcc_lo, s2
	v_div_fmas_f32 v39, v47, v39, v66
	s_mov_b32 vcc_lo, s5
	v_div_fixup_f32 v26, v26, v34, v32
	v_div_fmas_f32 v10, v29, v10, v44
	v_mul_f32_e32 v29, v7, v41
	v_mul_f32_e32 v47, v2, v40
	s_delay_alu instid0(VALU_DEP_4) | instskip(NEXT) | instid1(VALU_DEP_3)
	v_dual_mul_f32 v42, v2, v7 :: v_dual_add_f32 v25, v25, v26
	v_dual_mul_f32 v50, 4.0, v7 :: v_dual_mul_f32 v7, v7, v29
	v_dual_add_f32 v44, v27, v40 :: v_dual_mul_f32 v29, v29, v11
	v_add_f32_e32 v28, v33, v28
	s_delay_alu instid0(VALU_DEP_3) | instskip(SKIP_4) | instid1(VALU_DEP_4)
	v_dual_mul_f32 v26, v2, v45 :: v_dual_mul_f32 v7, v7, v11
	v_fma_f32 v33, v27, v11, -v47
	v_mul_f32_e32 v40, v30, v40
	v_div_fixup_f32 v30, v39, v30, v46
	v_div_scale_f32 v32, null, v4, v4, v42
	v_mul_f32_e32 v33, v49, v33
	s_delay_alu instid0(VALU_DEP_4)
	v_dual_mul_f32 v41, 0x40c00000, v41 :: v_dual_fmac_f32 v40, v31, v27
	v_mul_f32_e32 v29, v2, v29
	v_add_f32_e32 v25, v30, v25
	v_div_scale_f32 v30, null, v4, v4, v26
	v_div_fixup_f32 v1, v10, v2, v1
	v_rcp_f32_e32 v10, v32
	v_mov_b32_dpp v27, v28 row_ror:4 row_mask:0xf bank_mask:0xf
	v_mul_f32_e32 v39, v41, v40
	v_rcp_f32_e32 v40, v30
	v_mul_f32_e32 v7, v2, v7
	v_div_scale_f32 v31, s0, v26, v4, v26
	v_mul_f32_e32 v2, v2, v27
	v_div_scale_f32 v46, null, v21, v21, v39
	v_div_scale_f32 v45, s1, v33, v4, v33
	s_delay_alu instid0(VALU_DEP_3)
	v_fma_f32 v2, v28, v11, -v2
	v_add_f32_e32 v1, v1, v25
	v_fma_f32 v25, -v32, v10, 1.0
	v_add_f32_e32 v41, v28, v27
	v_fma_f32 v28, -v30, v40, 1.0
	v_div_scale_f32 v34, vcc_lo, v42, v4, v42
	s_delay_alu instid0(VALU_DEP_4) | instskip(SKIP_1) | instid1(VALU_DEP_4)
	v_fmac_f32_e32 v10, v25, v10
	v_mul_f32_e32 v2, v50, v2
	v_fmac_f32_e32 v40, v28, v40
	v_mul_f32_e32 v29, v36, v29
	v_div_scale_f32 v36, null, v4, v4, v33
	s_delay_alu instid0(VALU_DEP_4) | instskip(SKIP_1) | instid1(VALU_DEP_3)
	v_div_scale_f32 v57, s5, v2, v4, v2
	v_mov_b32_dpp v27, v1 row_ror:4 row_mask:0xf bank_mask:0xf
	v_rcp_f32_e32 v49, v36
	v_div_scale_f32 v56, null, v4, v4, v2
	v_div_scale_f32 v47, s2, v39, v21, v39
	s_waitcnt_depctr 0xfff
	v_fma_f32 v28, -v36, v49, 1.0
	s_delay_alu instid0(VALU_DEP_1)
	v_fmac_f32_e32 v49, v28, v49
	v_mul_f32_e32 v7, v35, v7
	v_rcp_f32_e32 v35, v46
	v_rcp_f32_e32 v28, v56
	s_waitcnt_depctr 0xfff
	v_fma_f32 v54, -v46, v35, 1.0
	s_delay_alu instid0(VALU_DEP_1) | instskip(SKIP_2) | instid1(VALU_DEP_2)
	v_dual_fmac_f32 v35, v54, v35 :: v_dual_mul_f32 v54, v45, v49
	v_mul_f32_e32 v11, v34, v10
	v_div_scale_f32 v52, s4, v7, v23, v7
	v_fma_f32 v50, -v32, v11, v34
	s_delay_alu instid0(VALU_DEP_1) | instskip(SKIP_2) | instid1(VALU_DEP_3)
	v_dual_fmac_f32 v11, v50, v10 :: v_dual_mul_f32 v50, v31, v40
	v_div_scale_f32 v25, null, v21, v21, v29
	v_div_scale_f32 v48, s3, v29, v21, v29
	v_fma_f32 v32, -v32, v11, v34
	s_delay_alu instid0(VALU_DEP_4) | instskip(NEXT) | instid1(VALU_DEP_4)
	v_fma_f32 v34, -v30, v50, v31
	v_rcp_f32_e32 v51, v25
	v_add_f32_e32 v1, v1, v27
	v_div_scale_f32 v27, null, v23, v23, v7
	s_delay_alu instid0(VALU_DEP_3) | instskip(SKIP_2) | instid1(VALU_DEP_3)
	v_fmac_f32_e32 v50, v34, v40
	v_div_fmas_f32 v10, v32, v10, v11
	s_mov_b32 vcc_lo, s0
	v_rcp_f32_e32 v53, v27
	v_fma_f32 v32, -v36, v54, v45
	v_fma_f32 v30, -v30, v50, v31
	s_delay_alu instid0(TRANS32_DEP_2) | instskip(SKIP_1) | instid1(VALU_DEP_3)
	v_fma_f32 v58, -v25, v51, 1.0
	v_div_fixup_f32 v10, v10, v4, v42
	v_div_fmas_f32 v30, v30, v40, v50
	s_mov_b32 vcc_lo, s3
	s_delay_alu instid0(VALU_DEP_2) | instskip(NEXT) | instid1(VALU_DEP_2)
	v_add_f32_e32 v10, v10, v43
	v_div_fixup_f32 v26, v30, v4, v26
	v_fmac_f32_e32 v51, v58, v51
	v_fma_f32 v58, -v27, v53, 1.0
	s_delay_alu instid0(VALU_DEP_1) | instskip(SKIP_1) | instid1(VALU_DEP_1)
	v_dual_add_f32 v26, v44, v26 :: v_dual_fmac_f32 v53, v58, v53
	v_fma_f32 v58, -v56, v28, 1.0
	v_dual_fmac_f32 v28, v58, v28 :: v_dual_mul_f32 v11, v48, v51
	v_fmac_f32_e32 v54, v32, v49
	s_delay_alu instid0(VALU_DEP_4) | instskip(NEXT) | instid1(VALU_DEP_3)
	v_mul_f32_e32 v32, v52, v53
	v_fma_f32 v31, -v25, v11, v48
	s_delay_alu instid0(VALU_DEP_1) | instskip(NEXT) | instid1(VALU_DEP_4)
	v_fmac_f32_e32 v11, v31, v51
	v_fma_f32 v31, -v36, v54, v45
	v_dual_mul_f32 v36, v57, v28 :: v_dual_mul_f32 v59, v47, v35
	s_delay_alu instid0(VALU_DEP_1) | instskip(NEXT) | instid1(VALU_DEP_2)
	v_fma_f32 v30, -v56, v36, v57
	v_fma_f32 v34, -v46, v59, v47
	s_delay_alu instid0(VALU_DEP_2) | instskip(NEXT) | instid1(VALU_DEP_2)
	v_fmac_f32_e32 v36, v30, v28
	v_fmac_f32_e32 v59, v34, v35
	v_fma_f32 v34, -v27, v32, v52
	v_mov_b32_dpp v30, v26 row_ror:8 row_mask:0xf bank_mask:0xf
	s_delay_alu instid0(VALU_DEP_2) | instskip(SKIP_1) | instid1(VALU_DEP_1)
	v_fmac_f32_e32 v32, v34, v53
	v_mov_b32_dpp v34, v10 row_ror:8 row_mask:0xf bank_mask:0xf
	v_sub_f32_e32 v10, v10, v34
	v_fma_f32 v25, -v25, v11, v48
	s_delay_alu instid0(VALU_DEP_2) | instskip(NEXT) | instid1(VALU_DEP_2)
	v_mul_f32_e32 v42, 0x40400000, v10
	v_div_fmas_f32 v11, v25, v51, v11
	s_mov_b32 vcc_lo, s1
	v_fma_f32 v25, -v27, v32, v52
	v_div_fmas_f32 v27, v31, v49, v54
	s_mov_b32 vcc_lo, s4
	v_div_fixup_f32 v11, v11, v21, v29
	v_fma_f32 v40, -v46, v59, v47
	v_div_fmas_f32 v25, v25, v53, v32
	v_div_fixup_f32 v27, v27, v4, v33
	s_mov_b32 vcc_lo, s2
	v_add_f32_e32 v11, v41, v11
	v_div_fmas_f32 v33, v40, v35, v59
	v_mul_f32_e32 v40, v4, v30
	v_div_fixup_f32 v7, v25, v23, v7
	v_add_f32_e32 v35, v26, v30
	v_dual_mul_f32 v30, v21, v30 :: v_dual_add_f32 v11, v27, v11
	v_fma_f32 v29, -v56, v36, v57
	s_delay_alu instid0(VALU_DEP_4) | instskip(SKIP_1) | instid1(VALU_DEP_4)
	v_add_f32_e32 v1, v1, v7
	v_fma_f32 v27, v26, v13, -v40
	v_fmac_f32_e32 v30, v20, v26
	v_mov_b32_dpp v20, v11 row_ror:8 row_mask:0xf bank_mask:0xf
	v_mul_f32_e32 v31, v10, v10
	s_mov_b32 vcc_lo, s5
	v_mul_f32_e32 v43, 4.0, v10
	v_div_fmas_f32 v23, v29, v28, v36
	s_delay_alu instid0(VALU_DEP_3) | instskip(SKIP_1) | instid1(VALU_DEP_3)
	v_dual_mul_f32 v27, v42, v27 :: v_dual_mul_f32 v36, v31, v13
	v_dual_mul_f32 v25, v10, v31 :: v_dual_mul_f32 v32, v4, v10
	v_div_fixup_f32 v2, v23, v4, v2
	v_div_fixup_f32 v21, v33, v21, v39
	s_delay_alu instid0(VALU_DEP_4) | instskip(SKIP_2) | instid1(VALU_DEP_4)
	v_mul_f32_e32 v23, v4, v36
	v_div_scale_f32 v36, null, v3, v3, v27
	v_div_scale_f32 v28, null, v3, v3, v32
	v_add_f32_e32 v1, v21, v1
	s_delay_alu instid0(VALU_DEP_3) | instskip(SKIP_1) | instid1(VALU_DEP_3)
	v_rcp_f32_e32 v42, v36
	v_mul_f32_e32 v7, v10, v25
	v_rcp_f32_e32 v10, v28
	v_mul_f32_e32 v25, v25, v13
	v_div_scale_f32 v21, null, v3, v3, v23
	s_delay_alu instid0(VALU_DEP_3) | instskip(SKIP_3) | instid1(VALU_DEP_4)
	v_mul_f32_e32 v7, v7, v13
	v_add_f32_e32 v33, v11, v20
	v_add_f32_e32 v1, v2, v1
	v_div_scale_f32 v29, vcc_lo, v32, v3, v32
	v_mul_f32_e32 v7, v4, v7
	s_delay_alu instid0(TRANS32_DEP_1) | instskip(SKIP_1) | instid1(VALU_DEP_2)
	v_fma_f32 v2, -v28, v10, 1.0
	v_div_scale_f32 v26, s0, v23, v3, v23
	v_dual_mul_f32 v7, v37, v7 :: v_dual_fmac_f32 v10, v2, v10
	s_delay_alu instid0(VALU_DEP_1) | instskip(SKIP_2) | instid1(VALU_DEP_2)
	v_div_scale_f32 v45, s4, v7, v22, v7
	v_mul_f32_e32 v25, v4, v25
	v_dual_mul_f32 v4, v4, v20 :: v_dual_mul_f32 v31, 0x40c00000, v31
	v_mul_f32_e32 v25, v38, v25
	s_delay_alu instid0(VALU_DEP_2) | instskip(NEXT) | instid1(VALU_DEP_3)
	v_fma_f32 v4, v11, v13, -v4
	v_mul_f32_e32 v30, v31, v30
	v_rcp_f32_e32 v31, v21
	v_mul_f32_e32 v11, v29, v10
	v_div_scale_f32 v2, null, v19, v19, v25
	v_mul_f32_e32 v4, v43, v4
	v_div_scale_f32 v41, s3, v25, v19, v25
	s_delay_alu instid0(VALU_DEP_3) | instskip(SKIP_2) | instid1(TRANS32_DEP_2)
	v_rcp_f32_e32 v44, v2
	v_fma_f32 v43, -v28, v11, v29
	v_div_scale_f32 v39, null, v19, v19, v30
	v_fma_f32 v13, -v21, v31, 1.0
	v_div_scale_f32 v38, s1, v27, v3, v27
	s_delay_alu instid0(VALU_DEP_4) | instskip(NEXT) | instid1(VALU_DEP_4)
	v_fmac_f32_e32 v11, v43, v10
	v_rcp_f32_e32 v37, v39
	s_delay_alu instid0(VALU_DEP_3) | instskip(NEXT) | instid1(TRANS32_DEP_2)
	v_fmac_f32_e32 v31, v13, v31
	v_fma_f32 v50, -v2, v44, 1.0
	v_fma_f32 v13, -v36, v42, 1.0
	v_fma_f32 v28, -v28, v11, v29
	v_div_scale_f32 v40, s2, v30, v19, v30
	v_mul_f32_e32 v43, v26, v31
	v_fmac_f32_e32 v44, v50, v44
	s_delay_alu instid0(VALU_DEP_4)
	v_div_fmas_f32 v10, v28, v10, v11
	s_mov_b32 vcc_lo, s0
	v_fma_f32 v47, -v39, v37, 1.0
	v_fma_f32 v29, -v21, v43, v26
	v_mul_f32_e32 v11, v41, v44
	v_fmac_f32_e32 v42, v13, v42
	v_div_scale_f32 v48, null, v3, v3, v4
	s_delay_alu instid0(VALU_DEP_4) | instskip(SKIP_1) | instid1(VALU_DEP_4)
	v_fmac_f32_e32 v43, v29, v31
	v_fmac_f32_e32 v37, v47, v37
	v_mul_f32_e32 v47, v38, v42
	v_div_fixup_f32 v10, v10, v3, v32
	v_rcp_f32_e32 v13, v48
	v_fma_f32 v21, -v21, v43, v26
	v_fma_f32 v26, -v2, v11, v41
	v_mul_f32_e32 v51, v40, v37
	v_fma_f32 v28, -v36, v47, v38
	v_add_f32_e32 v10, v10, v34
	v_div_fmas_f32 v21, v21, v31, v43
	v_fmac_f32_e32 v11, v26, v44
	s_mov_b32 vcc_lo, s3
	v_fma_f32 v29, -v39, v51, v40
	v_fmac_f32_e32 v47, v28, v42
	v_div_fixup_f32 v21, v21, v3, v23
	v_fma_f32 v2, -v2, v11, v41
	v_div_scale_f32 v49, s5, v4, v3, v4
	v_fmac_f32_e32 v51, v29, v37
	s_delay_alu instid0(VALU_DEP_4) | instskip(NEXT) | instid1(VALU_DEP_4)
	v_add_f32_e32 v21, v35, v21
	v_div_fmas_f32 v2, v2, v44, v11
	v_fma_f32 v26, -v36, v47, v38
	s_mov_b32 vcc_lo, s1
	v_fma_f32 v32, -v39, v51, v40
	s_delay_alu instid0(VALU_DEP_3) | instskip(SKIP_3) | instid1(VALU_DEP_1)
	v_div_fixup_f32 v2, v2, v19, v25
	ds_swizzle_b32 v25, v21 offset:swizzle(BROADCAST,32,15)
	v_add_f32_e32 v2, v33, v2
	v_mov_b32_dpp v20, v1 row_ror:8 row_mask:0xf bank_mask:0xf
	v_add_f32_e32 v1, v1, v20
	v_div_scale_f32 v20, null, v22, v22, v7
	s_delay_alu instid0(VALU_DEP_1) | instskip(SKIP_2) | instid1(VALU_DEP_1)
	v_rcp_f32_e32 v46, v20
	s_waitcnt_depctr 0xfff
	v_fma_f32 v50, -v20, v46, 1.0
	v_fmac_f32_e32 v46, v50, v46
	v_fma_f32 v50, -v48, v13, 1.0
	s_delay_alu instid0(VALU_DEP_1) | instskip(NEXT) | instid1(VALU_DEP_1)
	v_dual_mul_f32 v28, v45, v46 :: v_dual_fmac_f32 v13, v50, v13
	v_fma_f32 v29, -v20, v28, v45
	s_delay_alu instid0(VALU_DEP_2) | instskip(NEXT) | instid1(VALU_DEP_2)
	v_mul_f32_e32 v31, v49, v13
	v_fmac_f32_e32 v28, v29, v46
	ds_swizzle_b32 v29, v10 offset:swizzle(BROADCAST,32,15)
	v_fma_f32 v23, -v48, v31, v49
	v_fma_f32 v11, -v20, v28, v45
	v_div_fmas_f32 v20, v26, v42, v47
	s_mov_b32 vcc_lo, s4
	s_delay_alu instid0(VALU_DEP_3) | instskip(NEXT) | instid1(VALU_DEP_3)
	v_fmac_f32_e32 v31, v23, v13
	v_div_fmas_f32 v11, v11, v46, v28
	s_delay_alu instid0(VALU_DEP_3)
	v_div_fixup_f32 v20, v20, v3, v27
	s_waitcnt lgkmcnt(1)
	v_mul_f32_e32 v27, v3, v25
	s_mov_b32 vcc_lo, s2
	v_fma_f32 v23, -v48, v31, v49
	v_div_fixup_f32 v7, v11, v22, v7
	v_add_f32_e32 v2, v20, v2
	v_fma_f32 v27, v21, v12, -v27
	s_delay_alu instid0(VALU_DEP_3) | instskip(SKIP_2) | instid1(VALU_DEP_1)
	v_add_f32_e32 v1, v1, v7
	s_waitcnt lgkmcnt(0)
	v_sub_f32_e32 v7, v10, v29
	v_mul_f32_e32 v22, 0x40400000, v7
	v_mul_f32_e32 v20, v3, v7
	s_delay_alu instid0(VALU_DEP_2) | instskip(SKIP_4) | instid1(VALU_DEP_3)
	v_mul_f32_e32 v22, v22, v27
	v_div_fmas_f32 v26, v32, v37, v51
	s_mov_b32 vcc_lo, s5
	v_div_fmas_f32 v11, v23, v13, v31
	v_div_scale_f32 v23, null, v8, v8, v20
	v_div_fixup_f32 v13, v26, v19, v30
	v_mul_f32_e32 v19, v19, v25
	s_delay_alu instid0(VALU_DEP_4)
	v_div_fixup_f32 v4, v11, v3, v4
	v_mul_f32_e32 v11, v7, v7
	v_rcp_f32_e32 v31, v23
	v_add_f32_e32 v1, v13, v1
	v_fmac_f32_e32 v19, v18, v21
	v_cmp_lt_f32_e32 vcc_lo, v24, v55
	v_mul_f32_e32 v26, v11, v12
	ds_swizzle_b32 v13, v2 offset:swizzle(BROADCAST,32,15)
	v_dual_add_f32 v1, v4, v1 :: v_dual_mul_f32 v4, v7, v11
	v_dual_mul_f32 v11, 0x40c00000, v11 :: v_dual_mul_f32 v26, v3, v26
	v_cndmask_b32_e32 v10, v55, v24, vcc_lo
	v_div_scale_f32 v24, vcc_lo, v20, v8, v20
	s_delay_alu instid0(VALU_DEP_4) | instskip(SKIP_3) | instid1(VALU_DEP_4)
	v_mul_f32_e32 v30, v7, v4
	v_mul_f32_e32 v4, v4, v12
	v_div_scale_f32 v18, null, v8, v8, v26
	v_mul_f32_e32 v11, v11, v19
	v_mul_f32_e32 v27, v30, v12
	s_delay_alu instid0(VALU_DEP_4) | instskip(SKIP_3) | instid1(VALU_DEP_2)
	v_mul_f32_e32 v4, v3, v4
	v_fma_f32 v19, -v23, v31, 1.0
	v_rcp_f32_e32 v30, v18
	v_div_scale_f32 v32, s0, v26, v8, v26
	v_dual_mul_f32 v4, v17, v4 :: v_dual_fmac_f32 v31, v19, v31
	v_mul_f32_e32 v27, v3, v27
	s_waitcnt lgkmcnt(0)
	v_mul_f32_e32 v3, v3, v13
	v_div_scale_f32 v17, null, v8, v8, v22
	v_div_scale_f32 v19, null, v14, v14, v4
	v_mul_f32_e32 v35, v24, v31
	s_delay_alu instid0(TRANS32_DEP_1) | instskip(SKIP_1) | instid1(VALU_DEP_4)
	v_fma_f32 v36, -v18, v30, 1.0
	v_mul_f32_e32 v16, v16, v27
	v_rcp_f32_e32 v38, v19
	v_fma_f32 v3, v2, v12, -v3
	v_fma_f32 v27, -v23, v35, v24
	v_fmac_f32_e32 v30, v36, v30
	v_div_scale_f32 v36, s2, v4, v14, v4
	v_div_scale_f32 v39, null, v15, v15, v16
	s_delay_alu instid0(VALU_DEP_4) | instskip(NEXT) | instid1(VALU_DEP_4)
	v_fmac_f32_e32 v35, v27, v31
	v_mul_f32_e32 v27, v32, v30
	s_delay_alu instid0(TRANS32_DEP_1)
	v_fma_f32 v40, -v19, v38, 1.0
	v_add_f32_e32 v2, v2, v13
	v_div_scale_f32 v34, null, v14, v14, v11
	v_fma_f32 v23, -v23, v35, v24
	v_fma_f32 v24, -v18, v27, v32
	v_fmac_f32_e32 v38, v40, v38
	v_rcp_f32_e32 v37, v17
	v_rcp_f32_e32 v42, v39
	v_div_fmas_f32 v23, v23, v31, v35
	v_fmac_f32_e32 v27, v24, v30
	v_mul_f32_e32 v24, v36, v38
	s_mov_b32 vcc_lo, s0
	v_rcp_f32_e32 v40, v34
	v_div_scale_f32 v33, s1, v22, v8, v22
	v_fma_f32 v12, -v18, v27, v32
	v_fma_f32 v18, -v19, v24, v36
	v_fma_f32 v41, -v17, v37, 1.0
	v_fma_f32 v31, -v39, v42, 1.0
	v_div_fixup_f32 v20, v23, v8, v20
	v_div_fmas_f32 v12, v12, v30, v27
	v_fmac_f32_e32 v24, v18, v38
	s_mov_b32 vcc_lo, s2
	v_dual_fmac_f32 v37, v41, v37 :: v_dual_fmac_f32 v42, v31, v42
	s_delay_alu instid0(VALU_DEP_3) | instskip(NEXT) | instid1(VALU_DEP_3)
	v_div_fixup_f32 v12, v12, v8, v26
	v_fma_f32 v19, -v19, v24, v36
	v_fma_f32 v31, -v34, v40, 1.0
	s_delay_alu instid0(VALU_DEP_4) | instskip(SKIP_1) | instid1(VALU_DEP_4)
	v_mul_f32_e32 v23, v33, v37
	v_div_scale_f32 v41, s4, v11, v14, v11
	v_div_fmas_f32 v19, v19, v38, v24
	s_delay_alu instid0(VALU_DEP_4) | instskip(NEXT) | instid1(VALU_DEP_4)
	v_fmac_f32_e32 v40, v31, v40
	v_fma_f32 v18, -v17, v23, v33
	ds_swizzle_b32 v28, v1 offset:swizzle(BROADCAST,32,15)
	s_mov_b32 vcc_lo, s1
	v_div_fixup_f32 v4, v19, v14, v4
	v_mul_f32_e32 v27, v41, v40
	v_fmac_f32_e32 v23, v18, v37
	s_delay_alu instid0(VALU_DEP_3) | instskip(NEXT) | instid1(VALU_DEP_2)
	v_dual_add_f32 v2, v2, v4 :: v_dual_add_f32 v21, v21, v25
	v_fma_f32 v17, -v17, v23, v33
	s_delay_alu instid0(VALU_DEP_2) | instskip(NEXT) | instid1(VALU_DEP_2)
	v_dual_add_f32 v12, v21, v12 :: v_dual_mul_f32 v7, 4.0, v7
	v_div_fmas_f32 v17, v17, v37, v23
	ds_bpermute_b32 v12, v5, v12 offset:124
	v_mul_f32_e32 v3, v7, v3
	v_div_scale_f32 v7, s3, v16, v15, v16
	s_delay_alu instid0(VALU_DEP_1)
	s_mov_b32 vcc_lo, s3
	s_waitcnt lgkmcnt(1)
	v_add_f32_e32 v1, v1, v28
	v_div_scale_f32 v32, null, v8, v8, v3
	v_mul_f32_e32 v35, v7, v42
	v_div_scale_f32 v24, s0, v3, v8, v3
	s_delay_alu instid0(VALU_DEP_3) | instskip(SKIP_1) | instid1(VALU_DEP_3)
	v_rcp_f32_e32 v31, v32
	v_div_fixup_f32 v4, v17, v8, v22
	v_fma_f32 v18, -v39, v35, v7
	s_delay_alu instid0(VALU_DEP_2) | instskip(NEXT) | instid1(VALU_DEP_2)
	v_add_f32_e32 v2, v4, v2
	v_fmac_f32_e32 v35, v18, v42
	v_fma_f32 v18, -v34, v27, v41
	s_waitcnt_depctr 0xfff
	v_fma_f32 v30, -v32, v31, 1.0
	v_fma_f32 v7, -v39, v35, v7
	v_fmac_f32_e32 v27, v18, v40
	s_delay_alu instid0(VALU_DEP_3) | instskip(NEXT) | instid1(VALU_DEP_3)
	v_fmac_f32_e32 v31, v30, v31
	v_div_fmas_f32 v7, v7, v42, v35
	s_delay_alu instid0(VALU_DEP_3) | instskip(SKIP_1) | instid1(VALU_DEP_3)
	v_fma_f32 v25, -v34, v27, v41
	s_mov_b32 vcc_lo, s4
	v_mul_f32_e32 v23, v24, v31
	s_delay_alu instid0(VALU_DEP_3) | instskip(NEXT) | instid1(VALU_DEP_3)
	v_div_fixup_f32 v7, v7, v15, v16
	v_div_fmas_f32 v15, v25, v40, v27
	s_mov_b32 vcc_lo, s0
	s_delay_alu instid0(VALU_DEP_3) | instskip(SKIP_3) | instid1(VALU_DEP_3)
	v_fma_f32 v18, -v32, v23, v24
	s_mov_b32 s0, exec_lo
	v_add_f32_e32 v1, v1, v7
	v_div_fixup_f32 v7, v15, v14, v11
	v_fmac_f32_e32 v23, v18, v31
	s_delay_alu instid0(VALU_DEP_2) | instskip(SKIP_1) | instid1(VALU_DEP_3)
	v_add_f32_e32 v1, v7, v1
	v_add_f32_e32 v7, v20, v29
	v_fma_f32 v13, -v32, v23, v24
	s_delay_alu instid0(VALU_DEP_1)
	v_div_fmas_f32 v11, v13, v31, v23
	v_cmp_gt_f32_e32 vcc_lo, v6, v9
	ds_bpermute_b32 v13, v5, v2 offset:124
	v_div_fixup_f32 v3, v11, v8, v3
	v_cndmask_b32_e32 v6, v9, v6, vcc_lo
	ds_bpermute_b32 v8, v5, v8 offset:124
	ds_bpermute_b32 v9, v5, v10 offset:124
	;; [unrolled: 1-line block ×3, first 2 shown]
	v_add_f32_e32 v1, v3, v1
	ds_bpermute_b32 v10, v5, v6 offset:124
	ds_bpermute_b32 v14, v5, v1 offset:124
	v_mbcnt_lo_u32_b32 v1, -1, 0
	s_delay_alu instid0(VALU_DEP_1)
	v_cmpx_eq_u32_e32 0, v1
	s_cbranch_execz .LBB34_16
; %bb.15:
	v_lshrrev_b32_e32 v2, 5, v0
	s_delay_alu instid0(VALU_DEP_1)
	v_mul_u32_u24_e32 v2, 28, v2
	s_waitcnt lgkmcnt(3)
	ds_store_2addr_b32 v2, v8, v9 offset0:112 offset1:113
	s_waitcnt lgkmcnt(2)
	ds_store_2addr_b32 v2, v10, v11 offset0:114 offset1:115
	ds_store_2addr_b32 v2, v12, v13 offset0:116 offset1:117
	s_waitcnt lgkmcnt(3)
	ds_store_b32 v2, v14 offset:472
.LBB34_16:
	s_or_b32 exec_lo, exec_lo, s0
	s_delay_alu instid0(SALU_CYCLE_1)
	s_mov_b32 s4, exec_lo
	s_waitcnt lgkmcnt(0)
	s_barrier
	buffer_gl0_inv
	v_cmpx_gt_u32_e32 32, v0
	s_cbranch_execz .LBB34_18
; %bb.17:
	v_and_b32_e32 v2, 7, v1
	s_delay_alu instid0(VALU_DEP_1)
	v_mul_u32_u24_e32 v9, 28, v2
	v_cmp_ne_u32_e32 vcc_lo, 7, v2
	ds_load_2addr_b32 v[3:4], v9 offset0:112 offset1:113
	ds_load_2addr_b32 v[5:6], v9 offset0:114 offset1:115
	;; [unrolled: 1-line block ×3, first 2 shown]
	v_add_co_ci_u32_e32 v10, vcc_lo, 0, v1, vcc_lo
	ds_load_b32 v9, v9 offset:472
	v_lshlrev_b32_e32 v10, 2, v10
	s_waitcnt lgkmcnt(3)
	ds_bpermute_b32 v11, v10, v3
	ds_bpermute_b32 v13, v10, v4
	s_waitcnt lgkmcnt(3)
	ds_bpermute_b32 v15, v10, v7
	s_waitcnt lgkmcnt(2)
	v_add_f32_e32 v19, v3, v11
	v_cmp_gt_u32_e32 vcc_lo, 6, v2
	v_mul_f32_e32 v23, v11, v11
	v_mul_f32_e32 v21, v7, v11
	v_cndmask_b32_e64 v17, 0, 1, vcc_lo
	s_waitcnt lgkmcnt(1)
	v_cmp_gt_f32_e32 vcc_lo, v4, v13
	s_delay_alu instid0(VALU_DEP_2)
	v_lshlrev_b32_e32 v17, 1, v17
	s_waitcnt lgkmcnt(0)
	v_dual_cndmask_b32 v4, v4, v13 :: v_dual_add_f32 v13, v7, v15
	ds_bpermute_b32 v12, v10, v6
	ds_bpermute_b32 v14, v10, v5
	;; [unrolled: 1-line block ×4, first 2 shown]
	v_add_lshl_u32 v17, v17, v1, 2
	s_waitcnt lgkmcnt(3)
	v_sub_f32_e32 v12, v12, v6
	s_waitcnt lgkmcnt(2)
	v_cmp_lt_f32_e32 vcc_lo, v5, v14
	v_mul_f32_e32 v18, v3, v3
	s_waitcnt lgkmcnt(0)
	v_dual_sub_f32 v20, v3, v11 :: v_dual_add_f32 v9, v9, v10
	v_mul_f32_e32 v25, v12, v12
	v_cndmask_b32_e32 v5, v5, v14, vcc_lo
	v_fma_f32 v22, -v3, v11, v18
	v_dual_mul_f32 v18, v18, v15 :: v_dual_mul_f32 v27, 0x40400000, v12
	v_fma_f32 v15, v3, v15, -v21
	v_dual_add_f32 v14, v8, v16 :: v_dual_mul_f32 v29, v3, v25
	v_mul_f32_e32 v8, v8, v11
	v_dual_mul_f32 v24, v19, v19 :: v_dual_mul_f32 v21, v12, v25
	v_dual_mul_f32 v26, v12, v11 :: v_dual_mul_f32 v25, 0x40c00000, v25
	v_mul_f32_e32 v15, v27, v15
	v_mul_f32_e32 v27, v29, v11
	s_delay_alu instid0(VALU_DEP_3) | instskip(NEXT) | instid1(VALU_DEP_3)
	v_div_scale_f32 v28, vcc_lo, v26, v19, v26
	v_div_scale_f32 v30, s0, v15, v19, v15
	v_dual_fmac_f32 v18, v7, v23 :: v_dual_mul_f32 v7, 4.0, v12
	v_fma_f32 v8, v3, v16, -v8
	v_div_scale_f32 v23, null, v19, v19, v26
	v_mul_f32_e32 v16, v19, v24
	v_div_scale_f32 v31, null, v19, v19, v27
	s_delay_alu instid0(VALU_DEP_4) | instskip(NEXT) | instid1(VALU_DEP_4)
	v_dual_mul_f32 v7, v7, v8 :: v_dual_mul_f32 v8, v12, v21
	v_rcp_f32_e32 v12, v23
	v_div_scale_f32 v29, null, v19, v19, v15
	s_delay_alu instid0(VALU_DEP_3) | instskip(SKIP_1) | instid1(VALU_DEP_2)
	v_rcp_f32_e32 v34, v31
	v_div_scale_f32 v35, s1, v27, v19, v27
	v_rcp_f32_e32 v32, v29
	s_delay_alu instid0(TRANS32_DEP_3) | instskip(NEXT) | instid1(VALU_DEP_1)
	v_fma_f32 v33, -v23, v12, 1.0
	v_dual_mul_f32 v21, v3, v21 :: v_dual_fmac_f32 v12, v33, v12
	s_delay_alu instid0(VALU_DEP_1) | instskip(SKIP_4) | instid1(VALU_DEP_3)
	v_mul_f32_e32 v21, v21, v11
	s_waitcnt_depctr 0xfff
	v_fma_f32 v33, -v29, v32, 1.0
	v_mul_f32_e32 v36, v28, v12
	v_dual_mul_f32 v3, v3, v8 :: v_dual_mul_f32 v20, v20, v21
	v_fmac_f32_e32 v32, v33, v32
	s_delay_alu instid0(VALU_DEP_3) | instskip(NEXT) | instid1(VALU_DEP_3)
	v_fma_f32 v39, -v23, v36, v28
	v_mul_f32_e32 v3, v3, v11
	s_delay_alu instid0(VALU_DEP_4) | instskip(NEXT) | instid1(VALU_DEP_3)
	v_div_scale_f32 v21, null, v24, v24, v20
	v_fmac_f32_e32 v36, v39, v12
	s_delay_alu instid0(VALU_DEP_2) | instskip(NEXT) | instid1(VALU_DEP_1)
	v_rcp_f32_e32 v37, v21
	v_fma_f32 v23, -v23, v36, v28
	s_delay_alu instid0(VALU_DEP_1)
	v_div_fmas_f32 v12, v23, v12, v36
	v_mul_f32_e32 v23, v30, v32
	s_waitcnt_depctr 0xfff
	v_fma_f32 v41, -v21, v37, 1.0
	v_fmac_f32_e32 v22, v11, v11
	v_mul_f32_e32 v18, v25, v18
	s_mov_b32 vcc_lo, s1
	v_div_fixup_f32 v12, v12, v19, v26
	v_fmac_f32_e32 v37, v41, v37
	v_mul_f32_e32 v3, v22, v3
	v_fma_f32 v22, -v31, v34, 1.0
	v_div_scale_f32 v8, null, v24, v24, v18
	v_div_scale_f32 v25, null, v19, v19, v7
	s_delay_alu instid0(VALU_DEP_4) | instskip(NEXT) | instid1(VALU_DEP_4)
	v_div_scale_f32 v38, null, v16, v16, v3
	v_fmac_f32_e32 v34, v22, v34
	v_div_scale_f32 v22, s2, v20, v24, v20
	s_delay_alu instid0(VALU_DEP_3)
	v_rcp_f32_e32 v33, v38
	v_rcp_f32_e32 v11, v8
	v_div_scale_f32 v39, s3, v3, v16, v3
	v_add_f32_e32 v6, v6, v12
	s_waitcnt_depctr 0xfff
	v_fma_f32 v28, -v38, v33, 1.0
	v_mul_f32_e32 v40, v35, v34
	v_fma_f32 v41, -v8, v11, 1.0
	s_delay_alu instid0(VALU_DEP_3) | instskip(NEXT) | instid1(VALU_DEP_3)
	v_fmac_f32_e32 v33, v28, v33
	v_fma_f32 v42, -v31, v40, v35
	s_delay_alu instid0(VALU_DEP_1) | instskip(SKIP_1) | instid1(VALU_DEP_2)
	v_dual_fmac_f32 v11, v41, v11 :: v_dual_fmac_f32 v40, v42, v34
	v_mul_f32_e32 v42, v22, v37
	v_fma_f32 v28, -v31, v40, v35
	s_delay_alu instid0(VALU_DEP_2) | instskip(NEXT) | instid1(VALU_DEP_1)
	v_fma_f32 v31, -v21, v42, v22
	v_fmac_f32_e32 v42, v31, v37
	v_mul_f32_e32 v31, v39, v33
	s_delay_alu instid0(VALU_DEP_4)
	v_div_fmas_f32 v26, v28, v34, v40
	v_fma_f32 v28, -v29, v23, v30
	s_mov_b32 vcc_lo, s2
	v_fma_f32 v21, -v21, v42, v22
	v_fma_f32 v22, -v38, v31, v39
	v_div_fixup_f32 v12, v26, v19, v27
	v_fmac_f32_e32 v23, v28, v32
	v_div_scale_f32 v27, s1, v18, v24, v18
	s_delay_alu instid0(VALU_DEP_4) | instskip(SKIP_1) | instid1(VALU_DEP_4)
	v_fmac_f32_e32 v31, v22, v33
	v_div_fmas_f32 v21, v21, v37, v42
	v_fma_f32 v29, -v29, v23, v30
	s_delay_alu instid0(VALU_DEP_4)
	v_mul_f32_e32 v22, v27, v11
	s_mov_b32 vcc_lo, s0
	v_rcp_f32_e32 v26, v25
	ds_bpermute_b32 v28, v17, v6
	v_div_fmas_f32 v23, v29, v32, v23
	v_fma_f32 v29, -v38, v31, v39
	s_mov_b32 vcc_lo, s3
	v_fma_f32 v32, -v8, v22, v27
	ds_bpermute_b32 v30, v17, v19
	v_div_fixup_f32 v15, v23, v19, v15
	v_div_fmas_f32 v29, v29, v33, v31
	s_mov_b32 vcc_lo, s1
	v_fma_f32 v34, -v25, v26, 1.0
	s_delay_alu instid0(VALU_DEP_2) | instskip(NEXT) | instid1(VALU_DEP_2)
	v_div_fixup_f32 v3, v29, v16, v3
	v_fmac_f32_e32 v26, v34, v26
	v_div_scale_f32 v34, s0, v7, v19, v7
	s_delay_alu instid0(VALU_DEP_3) | instskip(NEXT) | instid1(VALU_DEP_2)
	v_add_f32_e32 v3, v9, v3
	v_dual_fmac_f32 v22, v32, v11 :: v_dual_mul_f32 v31, v34, v26
	s_delay_alu instid0(VALU_DEP_1) | instskip(NEXT) | instid1(VALU_DEP_2)
	v_fma_f32 v8, -v8, v22, v27
	v_fma_f32 v16, -v25, v31, v34
	s_waitcnt lgkmcnt(0)
	v_sub_f32_e32 v29, v19, v30
	s_delay_alu instid0(VALU_DEP_3)
	v_div_fmas_f32 v8, v8, v11, v22
	s_mov_b32 vcc_lo, s0
	v_fmac_f32_e32 v31, v16, v26
	v_div_fixup_f32 v16, v21, v24, v20
	v_add_f32_e32 v27, v19, v30
	v_div_fixup_f32 v8, v8, v24, v18
	ds_bpermute_b32 v20, v17, v5
	v_dual_add_f32 v14, v14, v16 :: v_dual_add_f32 v3, v8, v3
	v_add_f32_e32 v8, v13, v12
	v_fma_f32 v9, -v25, v31, v34
	ds_bpermute_b32 v22, v17, v8
	v_div_fmas_f32 v9, v9, v26, v31
	v_mul_f32_e32 v26, v27, v27
	s_delay_alu instid0(VALU_DEP_2) | instskip(NEXT) | instid1(VALU_DEP_1)
	v_div_fixup_f32 v7, v9, v19, v7
	v_dual_sub_f32 v10, v28, v6 :: v_dual_add_f32 v3, v7, v3
	s_delay_alu instid0(VALU_DEP_1)
	v_mul_f32_e32 v16, v10, v10
	v_add_f32_e32 v9, v15, v14
	ds_bpermute_b32 v7, v17, v4
	v_mul_f32_e32 v34, 0x40400000, v10
	v_mul_f32_e32 v14, v10, v16
	;; [unrolled: 1-line block ×3, first 2 shown]
	ds_bpermute_b32 v32, v17, v9
	ds_bpermute_b32 v17, v17, v3
	v_mul_f32_e32 v21, v19, v14
	s_delay_alu instid0(VALU_DEP_1) | instskip(NEXT) | instid1(VALU_DEP_1)
	v_mul_f32_e32 v21, v21, v30
	v_dual_mul_f32 v28, v10, v30 :: v_dual_mul_f32 v21, v29, v21
	s_delay_alu instid0(VALU_DEP_1) | instskip(NEXT) | instid1(VALU_DEP_1)
	v_div_scale_f32 v11, null, v27, v27, v28
	v_rcp_f32_e32 v18, v11
	s_waitcnt lgkmcnt(0)
	v_add_f32_e32 v3, v3, v17
	s_waitcnt_depctr 0xfff
	v_fma_f32 v13, -v11, v18, 1.0
	s_delay_alu instid0(VALU_DEP_1) | instskip(SKIP_1) | instid1(VALU_DEP_1)
	v_fmac_f32_e32 v18, v13, v18
	v_div_scale_f32 v13, vcc_lo, v28, v27, v28
	v_mul_f32_e32 v23, v13, v18
	s_delay_alu instid0(VALU_DEP_1) | instskip(NEXT) | instid1(VALU_DEP_1)
	v_fma_f32 v31, -v11, v23, v13
	v_fmac_f32_e32 v23, v31, v18
	v_div_scale_f32 v31, null, v26, v26, v21
	s_delay_alu instid0(VALU_DEP_2) | instskip(NEXT) | instid1(VALU_DEP_1)
	v_fma_f32 v11, -v11, v23, v13
	v_div_fmas_f32 v11, v11, v18, v23
	v_cmp_gt_f32_e32 vcc_lo, v4, v7
	s_delay_alu instid0(VALU_DEP_2) | instskip(SKIP_1) | instid1(VALU_DEP_2)
	v_div_fixup_f32 v11, v11, v27, v28
	v_cndmask_b32_e32 v4, v4, v7, vcc_lo
	v_dual_mul_f32 v7, v8, v30 :: v_dual_add_f32 v6, v6, v11
	v_add_f32_e32 v11, v8, v22
	s_delay_alu instid0(VALU_DEP_2) | instskip(SKIP_1) | instid1(VALU_DEP_2)
	v_fma_f32 v7, v19, v22, -v7
	v_mul_f32_e32 v12, v12, v30
	v_dual_mul_f32 v22, v24, v22 :: v_dual_mul_f32 v7, v34, v7
	s_delay_alu instid0(VALU_DEP_2) | instskip(SKIP_1) | instid1(VALU_DEP_1)
	v_div_scale_f32 v15, null, v27, v27, v12
	v_div_scale_f32 v13, s0, v12, v27, v12
	s_mov_b32 vcc_lo, s0
	s_delay_alu instid0(VALU_DEP_2) | instskip(SKIP_1) | instid1(VALU_DEP_1)
	v_rcp_f32_e32 v25, v15
	v_div_scale_f32 v34, null, v27, v27, v7
	v_rcp_f32_e32 v35, v34
	s_waitcnt_depctr 0xfff
	v_fma_f32 v29, -v15, v25, 1.0
	s_delay_alu instid0(VALU_DEP_1) | instskip(SKIP_2) | instid1(VALU_DEP_2)
	v_fmac_f32_e32 v25, v29, v25
	v_rcp_f32_e32 v29, v31
	v_dual_mul_f32 v33, v27, v26 :: v_dual_mul_f32 v16, 0x40c00000, v16
	v_mul_f32_e32 v18, v13, v25
	s_delay_alu instid0(VALU_DEP_1) | instskip(SKIP_3) | instid1(VALU_DEP_2)
	v_fma_f32 v23, -v15, v18, v13
	s_waitcnt_depctr 0xfff
	v_fma_f32 v28, -v31, v29, 1.0
	v_fmac_f32_e32 v18, v23, v25
	v_fmac_f32_e32 v29, v28, v29
	v_div_scale_f32 v23, s1, v21, v26, v21
	v_mul_f32_e32 v14, v10, v14
	s_delay_alu instid0(VALU_DEP_4) | instskip(SKIP_1) | instid1(VALU_DEP_4)
	v_fma_f32 v13, -v15, v18, v13
	v_fma_f32 v28, -v19, v30, v24
	v_mul_f32_e32 v15, v23, v29
	s_delay_alu instid0(VALU_DEP_3) | instskip(SKIP_1) | instid1(VALU_DEP_3)
	v_div_fmas_f32 v13, v13, v25, v18
	v_cmp_gt_u32_e32 vcc_lo, 4, v2
	v_fma_f32 v24, -v31, v15, v23
	v_mul_f32_e32 v18, v30, v30
	v_fmac_f32_e32 v28, v30, v30
	v_div_fixup_f32 v12, v13, v27, v12
	v_cndmask_b32_e64 v2, 0, 1, vcc_lo
	v_fmac_f32_e32 v15, v24, v29
	s_mov_b32 vcc_lo, s1
	v_fmac_f32_e32 v22, v18, v8
	v_add_f32_e32 v18, v9, v32
	v_lshlrev_b32_e32 v2, 2, v2
	v_fma_f32 v23, -v31, v15, v23
	v_fma_f32 v8, -v34, v35, 1.0
	v_mul_f32_e32 v14, v19, v14
	s_delay_alu instid0(VALU_DEP_4) | instskip(NEXT) | instid1(VALU_DEP_4)
	v_add_lshl_u32 v1, v2, v1, 2
	v_div_fmas_f32 v15, v23, v29, v15
	s_delay_alu instid0(VALU_DEP_4)
	v_fmac_f32_e32 v35, v8, v35
	v_div_scale_f32 v8, s0, v7, v27, v7
	ds_bpermute_b32 v23, v1, v6
	v_div_fixup_f32 v15, v15, v26, v21
	v_mul_f32_e32 v9, v9, v30
	ds_bpermute_b32 v29, v1, v27
	s_mov_b32 vcc_lo, s0
	v_dual_add_f32 v13, v18, v15 :: v_dual_mul_f32 v16, v16, v22
	v_fma_f32 v9, v19, v32, -v9
	s_delay_alu instid0(VALU_DEP_2) | instskip(NEXT) | instid1(VALU_DEP_1)
	v_div_scale_f32 v22, null, v26, v26, v16
	v_rcp_f32_e32 v31, v22
	s_waitcnt lgkmcnt(1)
	v_sub_f32_e32 v17, v23, v6
	v_mul_f32_e32 v10, 4.0, v10
	s_delay_alu instid0(VALU_DEP_1)
	v_mul_f32_e32 v9, v10, v9
	s_waitcnt_depctr 0xfff
	v_fma_f32 v32, -v22, v31, 1.0
	v_mul_f32_e32 v14, v14, v30
	v_mul_f32_e32 v30, v8, v35
	v_div_scale_f32 v36, null, v27, v27, v9
	s_delay_alu instid0(VALU_DEP_4) | instskip(NEXT) | instid1(VALU_DEP_4)
	v_fmac_f32_e32 v31, v32, v31
	v_mul_f32_e32 v14, v28, v14
	s_delay_alu instid0(VALU_DEP_3) | instskip(NEXT) | instid1(VALU_DEP_1)
	v_rcp_f32_e32 v32, v36
	v_div_scale_f32 v25, null, v33, v33, v14
	v_div_scale_f32 v19, s2, v14, v33, v14
	s_delay_alu instid0(VALU_DEP_2) | instskip(SKIP_2) | instid1(VALU_DEP_1)
	v_rcp_f32_e32 v28, v25
	s_waitcnt_depctr 0xfff
	v_fma_f32 v24, -v25, v28, 1.0
	v_fmac_f32_e32 v28, v24, v28
	v_fma_f32 v24, -v34, v30, v8
	s_delay_alu instid0(VALU_DEP_2) | instskip(NEXT) | instid1(VALU_DEP_2)
	v_mul_f32_e32 v10, v19, v28
	v_fmac_f32_e32 v30, v24, v35
	s_delay_alu instid0(VALU_DEP_2) | instskip(NEXT) | instid1(VALU_DEP_2)
	v_fma_f32 v24, -v25, v10, v19
	v_fma_f32 v8, -v34, v30, v8
	v_fma_f32 v34, -v36, v32, 1.0
	s_delay_alu instid0(VALU_DEP_3) | instskip(NEXT) | instid1(VALU_DEP_3)
	v_fmac_f32_e32 v10, v24, v28
	v_div_fmas_f32 v30, v8, v35, v30
	s_mov_b32 vcc_lo, s2
	s_delay_alu instid0(VALU_DEP_3) | instskip(NEXT) | instid1(VALU_DEP_3)
	v_fmac_f32_e32 v32, v34, v32
	v_fma_f32 v8, -v25, v10, v19
	s_delay_alu instid0(VALU_DEP_3)
	v_div_fixup_f32 v7, v30, v27, v7
	v_div_scale_f32 v25, s0, v9, v27, v9
	s_waitcnt lgkmcnt(0)
	v_sub_f32_e32 v30, v27, v29
	v_div_fmas_f32 v8, v8, v28, v10
	v_add_f32_e32 v7, v7, v13
	v_div_scale_f32 v2, s3, v16, v26, v16
	s_delay_alu instid0(VALU_DEP_1) | instskip(NEXT) | instid1(VALU_DEP_3)
	s_mov_b32 vcc_lo, s3
	v_div_fixup_f32 v14, v8, v33, v14
	v_add_f32_e32 v8, v27, v29
	s_delay_alu instid0(VALU_DEP_3)
	v_mul_f32_e32 v24, v2, v31
	v_mul_f32_e32 v10, v25, v32
	ds_bpermute_b32 v18, v1, v7
	v_add_f32_e32 v3, v3, v14
	v_mul_f32_e32 v21, v8, v8
	v_fma_f32 v19, -v22, v24, v2
	s_delay_alu instid0(VALU_DEP_1) | instskip(SKIP_1) | instid1(VALU_DEP_2)
	v_fmac_f32_e32 v24, v19, v31
	v_fma_f32 v19, -v36, v10, v25
	v_fma_f32 v2, -v22, v24, v2
	s_delay_alu instid0(VALU_DEP_2) | instskip(NEXT) | instid1(VALU_DEP_2)
	v_fmac_f32_e32 v10, v19, v32
	v_div_fmas_f32 v2, v2, v31, v24
	s_delay_alu instid0(VALU_DEP_2) | instskip(SKIP_1) | instid1(VALU_DEP_2)
	v_fma_f32 v14, -v36, v10, v25
	s_mov_b32 vcc_lo, s0
	v_div_fixup_f32 v2, v2, v26, v16
	s_delay_alu instid0(VALU_DEP_2) | instskip(SKIP_1) | instid1(VALU_DEP_3)
	v_div_fmas_f32 v10, v14, v32, v10
	v_cmp_lt_f32_e32 vcc_lo, v5, v20
	v_add_f32_e32 v2, v2, v3
	v_mul_f32_e32 v22, v17, v29
	s_delay_alu instid0(VALU_DEP_4)
	v_div_fixup_f32 v3, v10, v27, v9
	v_cndmask_b32_e32 v5, v5, v20, vcc_lo
	v_add_f32_e32 v10, v11, v12
	ds_bpermute_b32 v11, v1, v4
	v_div_scale_f32 v19, null, v8, v8, v22
	v_dual_add_f32 v2, v3, v2 :: v_dual_mul_f32 v3, v17, v17
	ds_bpermute_b32 v14, v1, v10
	v_rcp_f32_e32 v16, v19
	ds_bpermute_b32 v13, v1, v5
	v_mul_f32_e32 v12, v27, v3
	v_mul_f32_e32 v20, v17, v3
	;; [unrolled: 1-line block ×3, first 2 shown]
	ds_bpermute_b32 v1, v1, v2
	v_mul_f32_e32 v25, v27, v20
	v_fma_f32 v9, -v19, v16, 1.0
	s_waitcnt lgkmcnt(3)
	v_cmp_gt_f32_e64 s0, v4, v11
	s_delay_alu instid0(VALU_DEP_2) | instskip(SKIP_2) | instid1(VALU_DEP_2)
	v_fmac_f32_e32 v16, v9, v16
	v_div_scale_f32 v9, vcc_lo, v22, v8, v22
	v_mul_f32_e32 v25, v25, v29
	v_mul_f32_e32 v15, v9, v16
	s_delay_alu instid0(VALU_DEP_1) | instskip(SKIP_2) | instid1(VALU_DEP_2)
	v_fma_f32 v23, -v19, v15, v9
	s_waitcnt lgkmcnt(0)
	v_add_f32_e32 v1, v2, v1
	v_fmac_f32_e32 v15, v23, v16
	s_delay_alu instid0(VALU_DEP_1) | instskip(SKIP_3) | instid1(VALU_DEP_4)
	v_fma_f32 v19, -v19, v15, v9
	v_cndmask_b32_e64 v9, v4, v11, s0
	v_mul_f32_e32 v4, v30, v25
	v_mul_f32_e32 v25, 0x40400000, v17
	v_div_fmas_f32 v11, v19, v16, v15
	v_mul_f32_e32 v15, v10, v29
	s_delay_alu instid0(VALU_DEP_1) | instskip(NEXT) | instid1(VALU_DEP_1)
	v_fma_f32 v15, v27, v14, -v15
	v_mul_f32_e32 v15, v25, v15
	v_fma_f32 v25, -v27, v29, v26
	v_mul_f32_e32 v26, v26, v14
	v_div_fixup_f32 v11, v11, v8, v22
	s_delay_alu instid0(VALU_DEP_4) | instskip(NEXT) | instid1(VALU_DEP_4)
	v_div_scale_f32 v32, null, v8, v8, v15
	v_fmac_f32_e32 v25, v29, v29
	s_delay_alu instid0(VALU_DEP_3) | instskip(NEXT) | instid1(VALU_DEP_3)
	v_add_f32_e32 v11, v6, v11
	v_rcp_f32_e32 v34, v32
	s_waitcnt_depctr 0xfff
	v_fma_f32 v35, -v32, v34, 1.0
	s_delay_alu instid0(VALU_DEP_1) | instskip(SKIP_3) | instid1(VALU_DEP_3)
	v_fmac_f32_e32 v34, v35, v34
	v_dual_mul_f32 v20, v17, v20 :: v_dual_mul_f32 v17, 4.0, v17
	v_mul_f32_e32 v12, v12, v29
	v_div_scale_f32 v35, s1, v15, v8, v15
	v_mul_f32_e32 v20, v27, v20
	v_mul_f32_e32 v28, v8, v21
	s_delay_alu instid0(VALU_DEP_4) | instskip(NEXT) | instid1(VALU_DEP_3)
	v_div_scale_f32 v24, null, v8, v8, v12
	v_mul_f32_e32 v20, v20, v29
	s_delay_alu instid0(VALU_DEP_2) | instskip(NEXT) | instid1(VALU_DEP_1)
	v_rcp_f32_e32 v23, v24
	v_mul_f32_e32 v20, v25, v20
	v_mul_f32_e32 v25, v29, v29
	;; [unrolled: 1-line block ×3, first 2 shown]
	v_add_f32_e32 v7, v7, v18
	v_div_scale_f32 v19, null, v21, v21, v4
	s_delay_alu instid0(VALU_DEP_4) | instskip(NEXT) | instid1(TRANS32_DEP_1)
	v_fmac_f32_e32 v26, v25, v10
	v_fma_f32 v16, -v24, v23, 1.0
	v_fma_f32 v27, v27, v18, -v29
	s_delay_alu instid0(VALU_DEP_4)
	v_rcp_f32_e32 v30, v19
	v_mul_f32_e32 v29, v35, v34
	v_mul_f32_e32 v3, v3, v26
	v_fmac_f32_e32 v23, v16, v23
	v_div_scale_f32 v16, vcc_lo, v12, v8, v12
	v_div_scale_f32 v25, s0, v4, v21, v4
	s_delay_alu instid0(VALU_DEP_4) | instskip(NEXT) | instid1(TRANS32_DEP_1)
	v_div_scale_f32 v26, null, v21, v21, v3
	v_fma_f32 v33, -v19, v30, 1.0
	s_delay_alu instid0(VALU_DEP_4) | instskip(SKIP_1) | instid1(VALU_DEP_4)
	v_mul_f32_e32 v31, v16, v23
	v_mul_f32_e32 v17, v17, v27
	v_rcp_f32_e32 v38, v26
	v_div_scale_f32 v27, s2, v20, v28, v20
	v_fmac_f32_e32 v30, v33, v30
	v_div_scale_f32 v33, null, v28, v28, v20
	v_fma_f32 v22, -v24, v31, v16
	v_div_scale_f32 v39, null, v8, v8, v17
	s_delay_alu instid0(VALU_DEP_3) | instskip(SKIP_1) | instid1(VALU_DEP_3)
	v_rcp_f32_e32 v36, v33
	v_div_scale_f32 v41, s3, v3, v21, v3
	v_dual_fmac_f32 v31, v22, v23 :: v_dual_mul_f32 v22, v25, v30
	v_add_f32_e32 v14, v10, v14
	s_delay_alu instid0(VALU_DEP_2) | instskip(NEXT) | instid1(VALU_DEP_3)
	v_fma_f32 v16, -v24, v31, v16
	v_fma_f32 v24, -v19, v22, v25
	s_waitcnt_depctr 0xfff
	v_fma_f32 v37, -v33, v36, 1.0
	v_div_fmas_f32 v16, v16, v23, v31
	v_fmac_f32_e32 v22, v24, v30
	s_delay_alu instid0(VALU_DEP_3)
	v_fmac_f32_e32 v36, v37, v36
	v_fma_f32 v37, -v26, v38, 1.0
	v_fma_f32 v24, -v32, v29, v35
	s_mov_b32 vcc_lo, s0
	v_fma_f32 v19, -v19, v22, v25
	v_mul_f32_e32 v40, v27, v36
	v_fmac_f32_e32 v38, v37, v38
	v_rcp_f32_e32 v37, v39
	v_fmac_f32_e32 v29, v24, v34
	v_div_fmas_f32 v19, v19, v30, v22
	v_fma_f32 v23, -v33, v40, v27
	v_mul_f32_e32 v24, v41, v38
	s_mov_b32 vcc_lo, s1
	v_fma_f32 v22, -v32, v29, v35
	v_div_fixup_f32 v4, v19, v21, v4
	v_fmac_f32_e32 v40, v23, v36
	v_fma_f32 v23, -v26, v24, v41
	v_fma_f32 v25, -v39, v37, 1.0
	v_div_fmas_f32 v22, v22, v34, v29
	s_mov_b32 vcc_lo, s2
	v_fma_f32 v27, -v33, v40, v27
	s_delay_alu instid0(VALU_DEP_3) | instskip(SKIP_1) | instid1(VALU_DEP_3)
	v_dual_fmac_f32 v24, v23, v38 :: v_dual_fmac_f32 v37, v25, v37
	v_div_scale_f32 v25, s0, v17, v8, v17
	v_div_fmas_f32 v23, v27, v36, v40
	s_delay_alu instid0(VALU_DEP_3) | instskip(SKIP_1) | instid1(VALU_DEP_3)
	v_fma_f32 v2, -v26, v24, v41
	s_mov_b32 vcc_lo, s3
	v_mul_f32_e32 v29, v25, v37
	v_div_fixup_f32 v12, v16, v8, v12
	v_add_f32_e32 v4, v7, v4
	v_div_fmas_f32 v2, v2, v38, v24
	s_mov_b32 vcc_lo, s0
	v_fma_f32 v27, -v39, v29, v25
	v_div_fixup_f32 v7, v22, v8, v15
	v_add_f32_e32 v12, v14, v12
	v_div_fixup_f32 v2, v2, v21, v3
	s_delay_alu instid0(VALU_DEP_4) | instskip(SKIP_1) | instid1(VALU_DEP_2)
	v_fmac_f32_e32 v29, v27, v37
	v_div_fixup_f32 v10, v23, v28, v20
	v_fma_f32 v18, -v39, v29, v25
	s_delay_alu instid0(VALU_DEP_2) | instskip(NEXT) | instid1(VALU_DEP_2)
	v_add_f32_e32 v1, v1, v10
	v_div_fmas_f32 v3, v18, v37, v29
	s_delay_alu instid0(VALU_DEP_2) | instskip(SKIP_1) | instid1(VALU_DEP_3)
	v_add_f32_e32 v1, v2, v1
	v_cmp_lt_f32_e32 vcc_lo, v5, v13
	v_div_fixup_f32 v2, v3, v8, v17
	v_dual_cndmask_b32 v10, v5, v13 :: v_dual_add_f32 v13, v7, v4
	s_delay_alu instid0(VALU_DEP_2)
	v_add_f32_e32 v14, v2, v1
.LBB34_18:
	s_or_b32 exec_lo, exec_lo, s4
	s_branch .LBB34_88
.LBB34_19:
                                        ; implicit-def: $vgpr7
                                        ; implicit-def: $vgpr4
	s_branch .LBB34_101
.LBB34_20:
                                        ; implicit-def: $vgpr14
                                        ; implicit-def: $vgpr13
                                        ; implicit-def: $vgpr8
                                        ; implicit-def: $vgpr10
	s_cbranch_execz .LBB34_54
; %bb.21:
	s_sub_i32 s5, s8, s26
	s_mov_b32 s0, exec_lo
                                        ; implicit-def: $vgpr11
	v_cmpx_gt_u32_e64 s5, v0
	s_cbranch_execz .LBB34_23
; %bb.22:
	v_lshlrev_b32_e32 v1, 2, v0
	global_load_b32 v11, v1, s[24:25]
.LBB34_23:
	s_or_b32 exec_lo, exec_lo, s0
	v_or_b32_e32 v1, 0x100, v0
                                        ; implicit-def: $vgpr3
	s_delay_alu instid0(VALU_DEP_1) | instskip(NEXT) | instid1(VALU_DEP_1)
	v_cmp_gt_u32_e64 s1, s5, v1
	s_and_saveexec_b32 s0, s1
	s_cbranch_execz .LBB34_25
; %bb.24:
	v_lshlrev_b32_e32 v1, 2, v0
	global_load_b32 v3, v1, s[24:25] offset:1024
.LBB34_25:
	s_or_b32 exec_lo, exec_lo, s0
	v_or_b32_e32 v1, 0x200, v0
                                        ; implicit-def: $vgpr2
	s_delay_alu instid0(VALU_DEP_1)
	v_cmp_gt_u32_e32 vcc_lo, s5, v1
	s_and_saveexec_b32 s0, vcc_lo
	s_cbranch_execz .LBB34_27
; %bb.26:
	v_lshlrev_b32_e32 v1, 2, v0
	global_load_b32 v2, v1, s[24:25] offset:2048
.LBB34_27:
	s_or_b32 exec_lo, exec_lo, s0
	v_or_b32_e32 v1, 0x300, v0
	s_delay_alu instid0(VALU_DEP_1) | instskip(NEXT) | instid1(VALU_DEP_1)
	v_cmp_gt_u32_e64 s0, s5, v1
                                        ; implicit-def: $vgpr1
	s_and_saveexec_b32 s2, s0
	s_cbranch_execz .LBB34_29
; %bb.28:
	v_lshlrev_b32_e32 v1, 2, v0
	global_load_b32 v1, v1, s[24:25] offset:3072
.LBB34_29:
	s_or_b32 exec_lo, exec_lo, s2
	s_waitcnt vmcnt(0)
	v_dual_mov_b32 v12, 0 :: v_dual_mov_b32 v9, v11
	v_dual_mov_b32 v8, 1.0 :: v_dual_mov_b32 v13, 0
	v_mov_b32_e32 v10, v11
	v_mov_b32_e32 v14, 0
	s_and_saveexec_b32 s2, s1
	s_cbranch_execnz .LBB34_133
; %bb.30:
	s_or_b32 exec_lo, exec_lo, s2
	s_and_saveexec_b32 s6, vcc_lo
	s_cbranch_execnz .LBB34_134
.LBB34_31:
	s_or_b32 exec_lo, exec_lo, s6
	s_and_saveexec_b32 s6, s0
	s_cbranch_execz .LBB34_33
.LBB34_32:
	v_dual_add_f32 v2, 1.0, v8 :: v_dual_sub_f32 v3, v1, v11
	v_fma_f32 v18, v8, v8, -v8
	v_cmp_lt_f32_e32 vcc_lo, v1, v9
	s_delay_alu instid0(VALU_DEP_3) | instskip(NEXT) | instid1(VALU_DEP_4)
	v_dual_add_f32 v5, 0, v12 :: v_dual_mul_f32 v20, v2, v2
	v_div_scale_f32 v4, null, v2, v2, v3
	s_delay_alu instid0(VALU_DEP_4) | instskip(SKIP_1) | instid1(VALU_DEP_3)
	v_dual_mul_f32 v7, v3, v3 :: v_dual_add_f32 v18, 1.0, v18
	v_mul_f32_e32 v17, v8, v8
	v_rcp_f32_e32 v15, v4
	v_dual_cndmask_b32 v9, v9, v1 :: v_dual_add_f32 v6, -1.0, v8
	s_delay_alu instid0(VALU_DEP_3)
	v_mul_f32_e32 v24, v3, v7
	v_fma_f32 v16, v8, 0, -v12
	v_mul_f32_e32 v25, 0x40400000, v3
	v_div_scale_f32 v21, vcc_lo, v3, v2, v3
	v_fmac_f32_e32 v12, 0, v17
	v_add_f32_e32 v14, 0, v14
	s_delay_alu instid0(TRANS32_DEP_1) | instskip(NEXT) | instid1(VALU_DEP_1)
	v_fma_f32 v23, -v4, v15, 1.0
	v_fmac_f32_e32 v15, v23, v15
	v_mul_f32_e32 v23, v8, v24
	v_mul_f32_e32 v19, v7, v8
	;; [unrolled: 1-line block ×6, first 2 shown]
	v_div_scale_f32 v22, null, v2, v2, v19
	v_mul_f32_e32 v24, v8, v24
	v_div_scale_f32 v23, s0, v19, v2, v19
	s_delay_alu instid0(VALU_DEP_3)
	v_rcp_f32_e32 v26, v22
	v_fma_f32 v29, -v4, v25, v21
	v_div_scale_f32 v30, null, v20, v20, v6
	v_dual_mul_f32 v18, v24, v18 :: v_dual_mul_f32 v7, 0x40c00000, v7
	v_div_scale_f32 v31, null, v2, v2, v16
	v_fma_f32 v8, v8, 0, -v13
	v_add_f32_e32 v13, 0, v13
	s_delay_alu instid0(TRANS32_DEP_1) | instskip(NEXT) | instid1(VALU_DEP_1)
	v_fma_f32 v28, -v22, v26, 1.0
	v_dual_mul_f32 v27, v2, v20 :: v_dual_fmac_f32 v26, v28, v26
	v_fmac_f32_e32 v25, v29, v15
	v_rcp_f32_e32 v28, v30
	s_delay_alu instid0(VALU_DEP_2) | instskip(NEXT) | instid1(VALU_DEP_3)
	v_div_scale_f32 v17, null, v27, v27, v18
	v_mul_f32_e32 v32, v23, v26
	s_delay_alu instid0(VALU_DEP_3) | instskip(SKIP_1) | instid1(VALU_DEP_3)
	v_fma_f32 v4, -v4, v25, v21
	v_rcp_f32_e32 v29, v31
	v_rcp_f32_e32 v24, v17
	s_delay_alu instid0(VALU_DEP_2) | instskip(SKIP_2) | instid1(TRANS32_DEP_3)
	v_fma_f32 v21, -v22, v32, v23
	v_mul_f32_e32 v7, v7, v12
	v_div_fmas_f32 v4, v4, v15, v25
	v_fma_f32 v15, -v30, v28, 1.0
	s_mov_b32 vcc_lo, s0
	v_fmac_f32_e32 v32, v21, v26
	v_div_scale_f32 v25, null, v20, v20, v7
	s_delay_alu instid0(TRANS32_DEP_2) | instskip(SKIP_2) | instid1(VALU_DEP_4)
	v_fma_f32 v12, -v31, v29, 1.0
	v_fmac_f32_e32 v28, v15, v28
	v_div_scale_f32 v15, s1, v6, v20, v6
	v_rcp_f32_e32 v34, v25
	s_delay_alu instid0(VALU_DEP_3)
	v_fmac_f32_e32 v29, v12, v29
	v_fma_f32 v33, -v17, v24, 1.0
	v_div_fixup_f32 v4, v4, v2, v3
	v_mul_f32_e32 v3, 4.0, v3
	v_fma_f32 v22, -v22, v32, v23
	v_div_scale_f32 v12, s2, v16, v2, v16
	v_fmac_f32_e32 v24, v33, v24
	v_div_scale_f32 v38, s4, v7, v20, v7
	s_delay_alu instid0(TRANS32_DEP_1) | instskip(SKIP_3) | instid1(VALU_DEP_3)
	v_fma_f32 v33, -v25, v34, 1.0
	v_mul_f32_e32 v21, v15, v28
	v_div_fmas_f32 v22, v22, v26, v32
	s_mov_b32 vcc_lo, s1
	v_dual_add_f32 v11, v11, v4 :: v_dual_fmac_f32 v34, v33, v34
	s_delay_alu instid0(VALU_DEP_3) | instskip(SKIP_2) | instid1(VALU_DEP_3)
	v_fma_f32 v23, -v30, v21, v15
	v_mul_f32_e32 v35, v12, v29
	v_div_fixup_f32 v19, v22, v2, v19
	v_dual_mul_f32 v26, v38, v34 :: v_dual_fmac_f32 v21, v23, v28
	s_delay_alu instid0(VALU_DEP_3) | instskip(NEXT) | instid1(VALU_DEP_3)
	v_fma_f32 v23, -v31, v35, v12
	v_add_f32_e32 v5, v5, v19
	s_delay_alu instid0(VALU_DEP_3) | instskip(NEXT) | instid1(VALU_DEP_3)
	v_fma_f32 v15, -v30, v21, v15
	v_fmac_f32_e32 v35, v23, v29
	s_delay_alu instid0(VALU_DEP_2) | instskip(SKIP_3) | instid1(VALU_DEP_4)
	v_div_fmas_f32 v15, v15, v28, v21
	v_fma_f32 v21, -v25, v26, v38
	v_mul_f32_e32 v3, v3, v8
	v_div_scale_f32 v8, s3, v18, v27, v18
	v_div_fixup_f32 v6, v15, v20, v6
	s_delay_alu instid0(VALU_DEP_4) | instskip(SKIP_1) | instid1(VALU_DEP_4)
	v_fmac_f32_e32 v26, v21, v34
	v_fma_f32 v12, -v31, v35, v12
	v_mul_f32_e32 v37, v8, v24
	v_div_scale_f32 v36, null, v2, v2, v3
	v_add_f32_e32 v6, v13, v6
	s_mov_b32 vcc_lo, s2
	s_delay_alu instid0(VALU_DEP_3)
	v_fma_f32 v23, -v17, v37, v8
	v_div_fmas_f32 v12, v12, v29, v35
	s_mov_b32 vcc_lo, s3
	v_rcp_f32_e32 v33, v36
	v_fma_f32 v22, -v25, v26, v38
	v_fmac_f32_e32 v37, v23, v24
	v_div_scale_f32 v23, s0, v3, v2, v3
	v_div_fixup_f32 v12, v12, v2, v16
	s_delay_alu instid0(VALU_DEP_3)
	v_fma_f32 v8, -v17, v37, v8
	s_waitcnt_depctr 0xfff
	v_fma_f32 v30, -v36, v33, 1.0
	v_add_f32_e32 v13, v12, v6
	v_div_fmas_f32 v8, v8, v24, v37
	s_mov_b32 vcc_lo, s4
	v_mov_b32_e32 v12, v5
	s_delay_alu instid0(VALU_DEP_2) | instskip(SKIP_2) | instid1(VALU_DEP_2)
	v_div_fixup_f32 v8, v8, v27, v18
	v_div_fmas_f32 v18, v22, v34, v26
	s_mov_b32 vcc_lo, s0
	v_add_f32_e32 v8, v14, v8
	s_delay_alu instid0(VALU_DEP_2) | instskip(NEXT) | instid1(VALU_DEP_1)
	v_div_fixup_f32 v7, v18, v20, v7
	v_add_f32_e32 v7, v7, v8
	v_fmac_f32_e32 v33, v30, v33
	s_delay_alu instid0(VALU_DEP_1) | instskip(NEXT) | instid1(VALU_DEP_1)
	v_dual_mov_b32 v8, v2 :: v_dual_mul_f32 v17, v23, v33
	v_fma_f32 v21, -v36, v17, v23
	s_delay_alu instid0(VALU_DEP_1) | instskip(NEXT) | instid1(VALU_DEP_1)
	v_fmac_f32_e32 v17, v21, v33
	v_fma_f32 v15, -v36, v17, v23
	s_delay_alu instid0(VALU_DEP_1) | instskip(SKIP_1) | instid1(VALU_DEP_2)
	v_div_fmas_f32 v14, v15, v33, v17
	v_cmp_lt_f32_e32 vcc_lo, v10, v1
	v_div_fixup_f32 v3, v14, v2, v3
	v_cndmask_b32_e32 v10, v10, v1, vcc_lo
	s_delay_alu instid0(VALU_DEP_2)
	v_add_f32_e32 v14, v3, v7
.LBB34_33:
	s_or_b32 exec_lo, exec_lo, s6
	v_mbcnt_lo_u32_b32 v1, -1, 0
	s_min_u32 s5, s5, 0x100
	s_mov_b32 s0, exec_lo
	s_delay_alu instid0(VALU_DEP_1) | instskip(SKIP_2) | instid1(VALU_DEP_1)
	v_cmp_ne_u32_e32 vcc_lo, 31, v1
	v_add_nc_u32_e32 v17, 1, v1
	v_add_co_ci_u32_e32 v2, vcc_lo, 0, v1, vcc_lo
	v_lshlrev_b32_e32 v2, 2, v2
	ds_bpermute_b32 v6, v2, v8
	ds_bpermute_b32 v15, v2, v9
	;; [unrolled: 1-line block ×7, first 2 shown]
	v_and_b32_e32 v2, 0xe0, v0
	s_delay_alu instid0(VALU_DEP_1) | instskip(NEXT) | instid1(VALU_DEP_1)
	v_sub_nc_u32_e64 v2, s5, v2 clamp
	v_cmpx_lt_u32_e64 v17, v2
	s_xor_b32 s6, exec_lo, s0
	s_cbranch_execz .LBB34_35
; %bb.34:
	s_waitcnt lgkmcnt(3)
	v_sub_f32_e32 v16, v16, v11
	v_cmp_gt_f32_e32 vcc_lo, v9, v15
	v_add_f32_e32 v17, v8, v6
	v_dual_mul_f32 v23, v8, v8 :: v_dual_mul_f32 v24, v6, v6
	s_delay_alu instid0(VALU_DEP_4) | instskip(SKIP_2) | instid1(VALU_DEP_4)
	v_dual_mul_f32 v20, v16, v16 :: v_dual_cndmask_b32 v9, v9, v15
	v_mul_f32_e32 v22, v12, v6
	v_sub_f32_e32 v19, v8, v6
	v_fma_f32 v31, -v8, v6, v23
	s_delay_alu instid0(VALU_DEP_4) | instskip(SKIP_2) | instid1(VALU_DEP_2)
	v_mul_f32_e32 v25, v8, v20
	s_waitcnt lgkmcnt(2)
	v_fma_f32 v22, v8, v7, -v22
	v_mul_f32_e32 v25, v25, v6
	v_mul_f32_e32 v15, v16, v6
	v_dual_add_f32 v18, v12, v7 :: v_dual_mul_f32 v29, 0x40400000, v16
	v_mul_f32_e32 v7, v23, v7
	s_delay_alu instid0(VALU_DEP_4) | instskip(NEXT) | instid1(VALU_DEP_4)
	v_div_scale_f32 v32, null, v17, v17, v25
	v_div_scale_f32 v21, null, v17, v17, v15
	v_div_scale_f32 v34, vcc_lo, v15, v17, v15
	s_delay_alu instid0(VALU_DEP_3) | instskip(NEXT) | instid1(VALU_DEP_2)
	v_rcp_f32_e32 v35, v32
	v_rcp_f32_e32 v26, v21
	v_div_scale_f32 v38, s0, v25, v17, v25
	v_fmac_f32_e32 v7, v12, v24
	v_fmac_f32_e32 v31, v6, v6
	s_waitcnt_depctr 0xfff
	v_fma_f32 v33, -v21, v26, 1.0
	v_mul_f32_e32 v27, v16, v20
	v_mul_f32_e32 v20, 0x40c00000, v20
	s_delay_alu instid0(VALU_DEP_3) | instskip(SKIP_2) | instid1(VALU_DEP_4)
	v_fmac_f32_e32 v26, v33, v26
	v_mul_f32_e32 v22, v29, v22
	v_fma_f32 v33, -v32, v35, 1.0
	v_mul_f32_e32 v7, v20, v7
	s_delay_alu instid0(VALU_DEP_4) | instskip(NEXT) | instid1(VALU_DEP_3)
	v_mul_f32_e32 v29, v34, v26
	v_fmac_f32_e32 v35, v33, v35
	s_delay_alu instid0(VALU_DEP_2) | instskip(NEXT) | instid1(VALU_DEP_1)
	v_fma_f32 v36, -v21, v29, v34
	v_fmac_f32_e32 v29, v36, v26
	s_delay_alu instid0(VALU_DEP_1) | instskip(NEXT) | instid1(VALU_DEP_4)
	v_fma_f32 v21, -v21, v29, v34
	v_mul_f32_e32 v34, v38, v35
	v_mul_f32_e32 v28, v17, v17
	;; [unrolled: 1-line block ×4, first 2 shown]
	v_div_scale_f32 v33, null, v17, v17, v22
	s_delay_alu instid0(VALU_DEP_4) | instskip(SKIP_2) | instid1(VALU_DEP_4)
	v_mul_f32_e32 v23, v17, v28
	v_div_fmas_f32 v21, v21, v26, v29
	v_mul_f32_e32 v30, v30, v6
	v_rcp_f32_e32 v26, v33
	v_fma_f32 v29, -v32, v34, v38
	v_dual_mul_f32 v27, v8, v27 :: v_dual_mul_f32 v16, 4.0, v16
	v_div_fixup_f32 v15, v21, v17, v15
	s_mov_b32 vcc_lo, s0
	s_delay_alu instid0(VALU_DEP_1) | instskip(SKIP_2) | instid1(VALU_DEP_1)
	v_add_f32_e32 v11, v11, v15
	s_waitcnt_depctr 0xfff
	v_fma_f32 v24, -v33, v26, 1.0
	v_fmac_f32_e32 v26, v24, v26
	v_dual_mul_f32 v19, v19, v30 :: v_dual_fmac_f32 v34, v29, v35
	v_div_scale_f32 v29, s2, v22, v17, v22
	s_delay_alu instid0(VALU_DEP_2) | instskip(SKIP_1) | instid1(VALU_DEP_2)
	v_div_scale_f32 v30, null, v28, v28, v19
	v_div_scale_f32 v12, s1, v19, v28, v19
	v_rcp_f32_e32 v37, v30
	s_waitcnt_depctr 0xfff
	v_fma_f32 v36, -v30, v37, 1.0
	s_delay_alu instid0(VALU_DEP_1) | instskip(NEXT) | instid1(VALU_DEP_1)
	v_fmac_f32_e32 v37, v36, v37
	v_dual_mul_f32 v20, v12, v37 :: v_dual_mul_f32 v27, v27, v6
	v_mul_f32_e32 v6, v13, v6
	s_waitcnt lgkmcnt(1)
	s_delay_alu instid0(VALU_DEP_1)
	v_fma_f32 v6, v8, v4, -v6
	v_fma_f32 v8, -v32, v34, v38
	v_fma_f32 v32, -v30, v20, v12
	v_mul_f32_e32 v38, v29, v26
	v_add_f32_e32 v4, v13, v4
	v_div_scale_f32 v24, null, v28, v28, v7
	s_delay_alu instid0(VALU_DEP_4) | instskip(SKIP_1) | instid1(VALU_DEP_3)
	v_dual_fmac_f32 v20, v32, v37 :: v_dual_mul_f32 v27, v31, v27
	v_div_fmas_f32 v8, v8, v35, v34
	v_rcp_f32_e32 v39, v24
	v_fma_f32 v32, -v33, v38, v29
	s_delay_alu instid0(VALU_DEP_3) | instskip(SKIP_3) | instid1(VALU_DEP_3)
	v_fma_f32 v12, -v30, v20, v12
	v_div_scale_f32 v21, null, v23, v23, v27
	v_div_fixup_f32 v8, v8, v17, v25
	v_div_scale_f32 v42, s4, v7, v28, v7
	v_rcp_f32_e32 v31, v21
	s_mov_b32 vcc_lo, s1
	s_delay_alu instid0(VALU_DEP_2) | instskip(SKIP_2) | instid1(VALU_DEP_1)
	v_add_f32_e32 v8, v18, v8
	s_waitcnt_depctr 0xfff
	v_fma_f32 v36, -v21, v31, 1.0
	v_fmac_f32_e32 v31, v36, v31
	v_mul_f32_e32 v6, v16, v6
	v_div_scale_f32 v16, s3, v27, v23, v27
	v_fma_f32 v36, -v24, v39, 1.0
	s_delay_alu instid0(VALU_DEP_2) | instskip(NEXT) | instid1(VALU_DEP_2)
	v_mul_f32_e32 v41, v16, v31
	v_fmac_f32_e32 v39, v36, v39
	s_delay_alu instid0(VALU_DEP_2) | instskip(NEXT) | instid1(VALU_DEP_1)
	v_fma_f32 v30, -v21, v41, v16
	v_fmac_f32_e32 v41, v30, v31
	v_div_scale_f32 v40, null, v17, v17, v6
	v_div_scale_f32 v30, s0, v6, v17, v6
	s_delay_alu instid0(VALU_DEP_3) | instskip(NEXT) | instid1(VALU_DEP_3)
	v_fma_f32 v16, -v21, v41, v16
	v_rcp_f32_e32 v36, v40
	s_waitcnt_depctr 0xfff
	v_fma_f32 v34, -v40, v36, 1.0
	s_delay_alu instid0(VALU_DEP_1)
	v_fmac_f32_e32 v36, v34, v36
	v_fmac_f32_e32 v38, v32, v26
	v_mul_f32_e32 v32, v42, v39
	v_div_fmas_f32 v12, v12, v37, v20
	s_mov_b32 vcc_lo, s2
	v_mul_f32_e32 v21, v30, v36
	v_fma_f32 v20, -v33, v38, v29
	v_fma_f32 v29, -v24, v32, v42
	v_div_fixup_f32 v12, v12, v28, v19
	s_waitcnt lgkmcnt(0)
	v_add_f32_e32 v5, v14, v5
	v_div_fmas_f32 v20, v20, v26, v38
	v_fmac_f32_e32 v32, v29, v39
	v_add_f32_e32 v4, v4, v12
	v_fma_f32 v26, -v40, v21, v30
	s_mov_b32 vcc_lo, s3
	v_div_fixup_f32 v12, v20, v17, v22
	v_div_fmas_f32 v16, v16, v31, v41
	v_fma_f32 v14, -v24, v32, v42
	v_fmac_f32_e32 v21, v26, v36
	s_mov_b32 vcc_lo, s4
	s_delay_alu instid0(VALU_DEP_3) | instskip(NEXT) | instid1(VALU_DEP_3)
	v_div_fixup_f32 v16, v16, v23, v27
	v_div_fmas_f32 v14, v14, v39, v32
	s_delay_alu instid0(VALU_DEP_3) | instskip(SKIP_1) | instid1(VALU_DEP_2)
	v_fma_f32 v13, -v40, v21, v30
	s_mov_b32 vcc_lo, s0
	v_div_fixup_f32 v7, v14, v28, v7
	s_delay_alu instid0(VALU_DEP_2) | instskip(SKIP_2) | instid1(VALU_DEP_3)
	v_div_fmas_f32 v13, v13, v36, v21
	v_cmp_lt_f32_e32 vcc_lo, v10, v3
	v_add_f32_e32 v5, v5, v16
	v_div_fixup_f32 v6, v13, v17, v6
	s_delay_alu instid0(VALU_DEP_2) | instskip(SKIP_3) | instid1(VALU_DEP_4)
	v_dual_cndmask_b32 v10, v10, v3 :: v_dual_add_f32 v5, v7, v5
	v_add_f32_e32 v13, v12, v4
	v_mov_b32_e32 v12, v8
	v_mov_b32_e32 v8, v17
	v_add_f32_e32 v14, v6, v5
.LBB34_35:
	s_or_b32 exec_lo, exec_lo, s6
	v_cmp_gt_u32_e32 vcc_lo, 30, v1
	v_add_nc_u32_e32 v17, 2, v1
	s_mov_b32 s6, exec_lo
	s_waitcnt lgkmcnt(4)
	v_cndmask_b32_e64 v3, 0, 1, vcc_lo
	s_delay_alu instid0(VALU_DEP_1) | instskip(SKIP_1) | instid1(VALU_DEP_1)
	v_lshlrev_b32_e32 v3, 1, v3
	s_waitcnt lgkmcnt(0)
	v_add_lshl_u32 v5, v3, v1, 2
	ds_bpermute_b32 v6, v5, v8
	ds_bpermute_b32 v15, v5, v9
	;; [unrolled: 1-line block ×7, first 2 shown]
	v_cmpx_lt_u32_e64 v17, v2
	s_cbranch_execz .LBB34_37
; %bb.36:
	s_waitcnt lgkmcnt(3)
	v_sub_f32_e32 v16, v16, v11
	v_cmp_gt_f32_e32 vcc_lo, v9, v15
	v_add_f32_e32 v17, v8, v6
	v_dual_mul_f32 v23, v8, v8 :: v_dual_mul_f32 v24, v6, v6
	s_delay_alu instid0(VALU_DEP_4) | instskip(SKIP_2) | instid1(VALU_DEP_4)
	v_dual_mul_f32 v20, v16, v16 :: v_dual_cndmask_b32 v9, v9, v15
	v_mul_f32_e32 v22, v12, v6
	v_sub_f32_e32 v19, v8, v6
	v_fma_f32 v31, -v8, v6, v23
	s_delay_alu instid0(VALU_DEP_4) | instskip(SKIP_2) | instid1(VALU_DEP_2)
	v_mul_f32_e32 v25, v8, v20
	s_waitcnt lgkmcnt(2)
	v_fma_f32 v22, v8, v7, -v22
	v_mul_f32_e32 v25, v25, v6
	v_mul_f32_e32 v15, v16, v6
	v_dual_add_f32 v18, v12, v7 :: v_dual_mul_f32 v29, 0x40400000, v16
	v_mul_f32_e32 v7, v23, v7
	s_delay_alu instid0(VALU_DEP_4) | instskip(NEXT) | instid1(VALU_DEP_4)
	v_div_scale_f32 v32, null, v17, v17, v25
	v_div_scale_f32 v21, null, v17, v17, v15
	v_div_scale_f32 v34, vcc_lo, v15, v17, v15
	s_delay_alu instid0(VALU_DEP_3) | instskip(NEXT) | instid1(VALU_DEP_2)
	v_rcp_f32_e32 v35, v32
	v_rcp_f32_e32 v26, v21
	v_div_scale_f32 v38, s0, v25, v17, v25
	v_fmac_f32_e32 v7, v12, v24
	v_fmac_f32_e32 v31, v6, v6
	s_waitcnt_depctr 0xfff
	v_fma_f32 v33, -v21, v26, 1.0
	v_mul_f32_e32 v27, v16, v20
	v_mul_f32_e32 v20, 0x40c00000, v20
	s_delay_alu instid0(VALU_DEP_3) | instskip(SKIP_2) | instid1(VALU_DEP_4)
	v_fmac_f32_e32 v26, v33, v26
	v_mul_f32_e32 v22, v29, v22
	v_fma_f32 v33, -v32, v35, 1.0
	v_mul_f32_e32 v7, v20, v7
	s_delay_alu instid0(VALU_DEP_4) | instskip(NEXT) | instid1(VALU_DEP_3)
	v_mul_f32_e32 v29, v34, v26
	v_fmac_f32_e32 v35, v33, v35
	s_delay_alu instid0(VALU_DEP_2) | instskip(NEXT) | instid1(VALU_DEP_1)
	v_fma_f32 v36, -v21, v29, v34
	v_fmac_f32_e32 v29, v36, v26
	s_delay_alu instid0(VALU_DEP_1) | instskip(NEXT) | instid1(VALU_DEP_4)
	v_fma_f32 v21, -v21, v29, v34
	v_mul_f32_e32 v34, v38, v35
	v_mul_f32_e32 v28, v17, v17
	;; [unrolled: 1-line block ×4, first 2 shown]
	v_div_scale_f32 v33, null, v17, v17, v22
	s_delay_alu instid0(VALU_DEP_4) | instskip(SKIP_2) | instid1(VALU_DEP_4)
	v_mul_f32_e32 v23, v17, v28
	v_div_fmas_f32 v21, v21, v26, v29
	v_mul_f32_e32 v30, v30, v6
	v_rcp_f32_e32 v26, v33
	v_fma_f32 v29, -v32, v34, v38
	v_dual_mul_f32 v27, v8, v27 :: v_dual_mul_f32 v16, 4.0, v16
	v_div_fixup_f32 v15, v21, v17, v15
	s_mov_b32 vcc_lo, s0
	s_delay_alu instid0(VALU_DEP_1) | instskip(SKIP_2) | instid1(VALU_DEP_1)
	v_add_f32_e32 v11, v11, v15
	s_waitcnt_depctr 0xfff
	v_fma_f32 v24, -v33, v26, 1.0
	v_fmac_f32_e32 v26, v24, v26
	v_dual_mul_f32 v19, v19, v30 :: v_dual_fmac_f32 v34, v29, v35
	v_div_scale_f32 v29, s2, v22, v17, v22
	s_delay_alu instid0(VALU_DEP_2) | instskip(SKIP_1) | instid1(VALU_DEP_2)
	v_div_scale_f32 v30, null, v28, v28, v19
	v_div_scale_f32 v12, s1, v19, v28, v19
	v_rcp_f32_e32 v37, v30
	s_waitcnt_depctr 0xfff
	v_fma_f32 v36, -v30, v37, 1.0
	s_delay_alu instid0(VALU_DEP_1) | instskip(NEXT) | instid1(VALU_DEP_1)
	v_fmac_f32_e32 v37, v36, v37
	v_dual_mul_f32 v20, v12, v37 :: v_dual_mul_f32 v27, v27, v6
	v_mul_f32_e32 v6, v13, v6
	s_waitcnt lgkmcnt(1)
	s_delay_alu instid0(VALU_DEP_1)
	v_fma_f32 v6, v8, v4, -v6
	v_fma_f32 v8, -v32, v34, v38
	v_fma_f32 v32, -v30, v20, v12
	v_mul_f32_e32 v38, v29, v26
	v_add_f32_e32 v4, v13, v4
	v_div_scale_f32 v24, null, v28, v28, v7
	s_delay_alu instid0(VALU_DEP_4) | instskip(SKIP_1) | instid1(VALU_DEP_3)
	v_dual_fmac_f32 v20, v32, v37 :: v_dual_mul_f32 v27, v31, v27
	v_div_fmas_f32 v8, v8, v35, v34
	v_rcp_f32_e32 v39, v24
	v_fma_f32 v32, -v33, v38, v29
	s_delay_alu instid0(VALU_DEP_3) | instskip(SKIP_3) | instid1(VALU_DEP_3)
	v_fma_f32 v12, -v30, v20, v12
	v_div_scale_f32 v21, null, v23, v23, v27
	v_div_fixup_f32 v8, v8, v17, v25
	v_div_scale_f32 v42, s4, v7, v28, v7
	v_rcp_f32_e32 v31, v21
	s_mov_b32 vcc_lo, s1
	s_delay_alu instid0(VALU_DEP_2) | instskip(SKIP_2) | instid1(VALU_DEP_1)
	v_add_f32_e32 v8, v18, v8
	s_waitcnt_depctr 0xfff
	v_fma_f32 v36, -v21, v31, 1.0
	v_fmac_f32_e32 v31, v36, v31
	v_mul_f32_e32 v6, v16, v6
	v_div_scale_f32 v16, s3, v27, v23, v27
	v_fma_f32 v36, -v24, v39, 1.0
	s_delay_alu instid0(VALU_DEP_2) | instskip(NEXT) | instid1(VALU_DEP_2)
	v_mul_f32_e32 v41, v16, v31
	v_fmac_f32_e32 v39, v36, v39
	s_delay_alu instid0(VALU_DEP_2) | instskip(NEXT) | instid1(VALU_DEP_1)
	v_fma_f32 v30, -v21, v41, v16
	v_fmac_f32_e32 v41, v30, v31
	v_div_scale_f32 v40, null, v17, v17, v6
	v_div_scale_f32 v30, s0, v6, v17, v6
	s_delay_alu instid0(VALU_DEP_3) | instskip(NEXT) | instid1(VALU_DEP_3)
	v_fma_f32 v16, -v21, v41, v16
	v_rcp_f32_e32 v36, v40
	s_waitcnt_depctr 0xfff
	v_fma_f32 v34, -v40, v36, 1.0
	s_delay_alu instid0(VALU_DEP_1)
	v_fmac_f32_e32 v36, v34, v36
	v_fmac_f32_e32 v38, v32, v26
	v_mul_f32_e32 v32, v42, v39
	v_div_fmas_f32 v12, v12, v37, v20
	s_mov_b32 vcc_lo, s2
	v_mul_f32_e32 v21, v30, v36
	v_fma_f32 v20, -v33, v38, v29
	v_fma_f32 v29, -v24, v32, v42
	v_div_fixup_f32 v12, v12, v28, v19
	s_waitcnt lgkmcnt(0)
	v_add_f32_e32 v5, v14, v5
	v_div_fmas_f32 v20, v20, v26, v38
	v_fmac_f32_e32 v32, v29, v39
	v_add_f32_e32 v4, v4, v12
	v_fma_f32 v26, -v40, v21, v30
	s_mov_b32 vcc_lo, s3
	v_div_fixup_f32 v12, v20, v17, v22
	v_div_fmas_f32 v16, v16, v31, v41
	v_fma_f32 v14, -v24, v32, v42
	v_fmac_f32_e32 v21, v26, v36
	s_mov_b32 vcc_lo, s4
	s_delay_alu instid0(VALU_DEP_3) | instskip(NEXT) | instid1(VALU_DEP_3)
	v_div_fixup_f32 v16, v16, v23, v27
	v_div_fmas_f32 v14, v14, v39, v32
	s_delay_alu instid0(VALU_DEP_3) | instskip(SKIP_1) | instid1(VALU_DEP_2)
	v_fma_f32 v13, -v40, v21, v30
	s_mov_b32 vcc_lo, s0
	v_div_fixup_f32 v7, v14, v28, v7
	s_delay_alu instid0(VALU_DEP_2) | instskip(SKIP_2) | instid1(VALU_DEP_3)
	v_div_fmas_f32 v13, v13, v36, v21
	v_cmp_lt_f32_e32 vcc_lo, v10, v3
	v_add_f32_e32 v5, v5, v16
	v_div_fixup_f32 v6, v13, v17, v6
	s_delay_alu instid0(VALU_DEP_2) | instskip(SKIP_3) | instid1(VALU_DEP_4)
	v_dual_cndmask_b32 v10, v10, v3 :: v_dual_add_f32 v5, v7, v5
	v_add_f32_e32 v13, v12, v4
	v_mov_b32_e32 v12, v8
	v_mov_b32_e32 v8, v17
	v_add_f32_e32 v14, v6, v5
.LBB34_37:
	s_or_b32 exec_lo, exec_lo, s6
	v_cmp_gt_u32_e32 vcc_lo, 28, v1
	v_add_nc_u32_e32 v17, 4, v1
	s_mov_b32 s6, exec_lo
	s_waitcnt lgkmcnt(4)
	v_cndmask_b32_e64 v3, 0, 1, vcc_lo
	s_delay_alu instid0(VALU_DEP_1) | instskip(SKIP_1) | instid1(VALU_DEP_1)
	v_lshlrev_b32_e32 v3, 2, v3
	s_waitcnt lgkmcnt(0)
	v_add_lshl_u32 v5, v3, v1, 2
	ds_bpermute_b32 v6, v5, v8
	ds_bpermute_b32 v15, v5, v9
	;; [unrolled: 1-line block ×7, first 2 shown]
	v_cmpx_lt_u32_e64 v17, v2
	s_cbranch_execz .LBB34_39
; %bb.38:
	s_waitcnt lgkmcnt(3)
	v_sub_f32_e32 v16, v16, v11
	v_cmp_gt_f32_e32 vcc_lo, v9, v15
	v_add_f32_e32 v17, v8, v6
	v_dual_mul_f32 v23, v8, v8 :: v_dual_mul_f32 v24, v6, v6
	s_delay_alu instid0(VALU_DEP_4) | instskip(SKIP_2) | instid1(VALU_DEP_4)
	v_dual_mul_f32 v20, v16, v16 :: v_dual_cndmask_b32 v9, v9, v15
	v_mul_f32_e32 v22, v12, v6
	v_sub_f32_e32 v19, v8, v6
	v_fma_f32 v31, -v8, v6, v23
	s_delay_alu instid0(VALU_DEP_4) | instskip(SKIP_2) | instid1(VALU_DEP_2)
	v_mul_f32_e32 v25, v8, v20
	s_waitcnt lgkmcnt(2)
	v_fma_f32 v22, v8, v7, -v22
	v_mul_f32_e32 v25, v25, v6
	v_mul_f32_e32 v15, v16, v6
	v_dual_add_f32 v18, v12, v7 :: v_dual_mul_f32 v29, 0x40400000, v16
	v_mul_f32_e32 v7, v23, v7
	s_delay_alu instid0(VALU_DEP_4) | instskip(NEXT) | instid1(VALU_DEP_4)
	v_div_scale_f32 v32, null, v17, v17, v25
	v_div_scale_f32 v21, null, v17, v17, v15
	v_div_scale_f32 v34, vcc_lo, v15, v17, v15
	s_delay_alu instid0(VALU_DEP_3) | instskip(NEXT) | instid1(VALU_DEP_2)
	v_rcp_f32_e32 v35, v32
	v_rcp_f32_e32 v26, v21
	v_div_scale_f32 v38, s0, v25, v17, v25
	v_fmac_f32_e32 v7, v12, v24
	v_fmac_f32_e32 v31, v6, v6
	s_waitcnt_depctr 0xfff
	v_fma_f32 v33, -v21, v26, 1.0
	v_mul_f32_e32 v27, v16, v20
	v_mul_f32_e32 v20, 0x40c00000, v20
	s_delay_alu instid0(VALU_DEP_3) | instskip(SKIP_2) | instid1(VALU_DEP_4)
	v_fmac_f32_e32 v26, v33, v26
	v_mul_f32_e32 v22, v29, v22
	v_fma_f32 v33, -v32, v35, 1.0
	v_mul_f32_e32 v7, v20, v7
	s_delay_alu instid0(VALU_DEP_4) | instskip(NEXT) | instid1(VALU_DEP_3)
	v_mul_f32_e32 v29, v34, v26
	v_fmac_f32_e32 v35, v33, v35
	s_delay_alu instid0(VALU_DEP_2) | instskip(NEXT) | instid1(VALU_DEP_1)
	v_fma_f32 v36, -v21, v29, v34
	v_fmac_f32_e32 v29, v36, v26
	s_delay_alu instid0(VALU_DEP_1) | instskip(NEXT) | instid1(VALU_DEP_4)
	v_fma_f32 v21, -v21, v29, v34
	v_mul_f32_e32 v34, v38, v35
	v_mul_f32_e32 v28, v17, v17
	;; [unrolled: 1-line block ×4, first 2 shown]
	v_div_scale_f32 v33, null, v17, v17, v22
	s_delay_alu instid0(VALU_DEP_4) | instskip(SKIP_2) | instid1(VALU_DEP_4)
	v_mul_f32_e32 v23, v17, v28
	v_div_fmas_f32 v21, v21, v26, v29
	v_mul_f32_e32 v30, v30, v6
	v_rcp_f32_e32 v26, v33
	v_fma_f32 v29, -v32, v34, v38
	v_dual_mul_f32 v27, v8, v27 :: v_dual_mul_f32 v16, 4.0, v16
	v_div_fixup_f32 v15, v21, v17, v15
	s_mov_b32 vcc_lo, s0
	s_delay_alu instid0(VALU_DEP_1) | instskip(SKIP_2) | instid1(VALU_DEP_1)
	v_add_f32_e32 v11, v11, v15
	s_waitcnt_depctr 0xfff
	v_fma_f32 v24, -v33, v26, 1.0
	v_fmac_f32_e32 v26, v24, v26
	v_dual_mul_f32 v19, v19, v30 :: v_dual_fmac_f32 v34, v29, v35
	v_div_scale_f32 v29, s2, v22, v17, v22
	s_delay_alu instid0(VALU_DEP_2) | instskip(SKIP_1) | instid1(VALU_DEP_2)
	v_div_scale_f32 v30, null, v28, v28, v19
	v_div_scale_f32 v12, s1, v19, v28, v19
	v_rcp_f32_e32 v37, v30
	s_waitcnt_depctr 0xfff
	v_fma_f32 v36, -v30, v37, 1.0
	s_delay_alu instid0(VALU_DEP_1) | instskip(NEXT) | instid1(VALU_DEP_1)
	v_fmac_f32_e32 v37, v36, v37
	v_dual_mul_f32 v20, v12, v37 :: v_dual_mul_f32 v27, v27, v6
	v_mul_f32_e32 v6, v13, v6
	s_waitcnt lgkmcnt(1)
	s_delay_alu instid0(VALU_DEP_1)
	v_fma_f32 v6, v8, v4, -v6
	v_fma_f32 v8, -v32, v34, v38
	v_fma_f32 v32, -v30, v20, v12
	v_mul_f32_e32 v38, v29, v26
	v_add_f32_e32 v4, v13, v4
	v_div_scale_f32 v24, null, v28, v28, v7
	s_delay_alu instid0(VALU_DEP_4) | instskip(SKIP_1) | instid1(VALU_DEP_3)
	v_dual_fmac_f32 v20, v32, v37 :: v_dual_mul_f32 v27, v31, v27
	v_div_fmas_f32 v8, v8, v35, v34
	v_rcp_f32_e32 v39, v24
	v_fma_f32 v32, -v33, v38, v29
	s_delay_alu instid0(VALU_DEP_3) | instskip(SKIP_3) | instid1(VALU_DEP_3)
	v_fma_f32 v12, -v30, v20, v12
	v_div_scale_f32 v21, null, v23, v23, v27
	v_div_fixup_f32 v8, v8, v17, v25
	v_div_scale_f32 v42, s4, v7, v28, v7
	v_rcp_f32_e32 v31, v21
	s_mov_b32 vcc_lo, s1
	s_delay_alu instid0(VALU_DEP_2) | instskip(SKIP_2) | instid1(VALU_DEP_1)
	v_add_f32_e32 v8, v18, v8
	s_waitcnt_depctr 0xfff
	v_fma_f32 v36, -v21, v31, 1.0
	v_fmac_f32_e32 v31, v36, v31
	v_mul_f32_e32 v6, v16, v6
	v_div_scale_f32 v16, s3, v27, v23, v27
	v_fma_f32 v36, -v24, v39, 1.0
	s_delay_alu instid0(VALU_DEP_2) | instskip(NEXT) | instid1(VALU_DEP_2)
	v_mul_f32_e32 v41, v16, v31
	v_fmac_f32_e32 v39, v36, v39
	s_delay_alu instid0(VALU_DEP_2) | instskip(NEXT) | instid1(VALU_DEP_1)
	v_fma_f32 v30, -v21, v41, v16
	v_fmac_f32_e32 v41, v30, v31
	v_div_scale_f32 v40, null, v17, v17, v6
	v_div_scale_f32 v30, s0, v6, v17, v6
	s_delay_alu instid0(VALU_DEP_3) | instskip(NEXT) | instid1(VALU_DEP_3)
	v_fma_f32 v16, -v21, v41, v16
	v_rcp_f32_e32 v36, v40
	s_waitcnt_depctr 0xfff
	v_fma_f32 v34, -v40, v36, 1.0
	s_delay_alu instid0(VALU_DEP_1)
	v_fmac_f32_e32 v36, v34, v36
	v_fmac_f32_e32 v38, v32, v26
	v_mul_f32_e32 v32, v42, v39
	v_div_fmas_f32 v12, v12, v37, v20
	s_mov_b32 vcc_lo, s2
	v_mul_f32_e32 v21, v30, v36
	v_fma_f32 v20, -v33, v38, v29
	v_fma_f32 v29, -v24, v32, v42
	v_div_fixup_f32 v12, v12, v28, v19
	s_waitcnt lgkmcnt(0)
	v_add_f32_e32 v5, v14, v5
	v_div_fmas_f32 v20, v20, v26, v38
	v_fmac_f32_e32 v32, v29, v39
	v_add_f32_e32 v4, v4, v12
	v_fma_f32 v26, -v40, v21, v30
	s_mov_b32 vcc_lo, s3
	v_div_fixup_f32 v12, v20, v17, v22
	v_div_fmas_f32 v16, v16, v31, v41
	v_fma_f32 v14, -v24, v32, v42
	v_fmac_f32_e32 v21, v26, v36
	s_mov_b32 vcc_lo, s4
	s_delay_alu instid0(VALU_DEP_3) | instskip(NEXT) | instid1(VALU_DEP_3)
	v_div_fixup_f32 v16, v16, v23, v27
	v_div_fmas_f32 v14, v14, v39, v32
	s_delay_alu instid0(VALU_DEP_3) | instskip(SKIP_1) | instid1(VALU_DEP_2)
	v_fma_f32 v13, -v40, v21, v30
	s_mov_b32 vcc_lo, s0
	v_div_fixup_f32 v7, v14, v28, v7
	s_delay_alu instid0(VALU_DEP_2) | instskip(SKIP_2) | instid1(VALU_DEP_3)
	v_div_fmas_f32 v13, v13, v36, v21
	v_cmp_lt_f32_e32 vcc_lo, v10, v3
	v_add_f32_e32 v5, v5, v16
	v_div_fixup_f32 v6, v13, v17, v6
	s_delay_alu instid0(VALU_DEP_2) | instskip(SKIP_3) | instid1(VALU_DEP_4)
	v_dual_cndmask_b32 v10, v10, v3 :: v_dual_add_f32 v5, v7, v5
	v_add_f32_e32 v13, v12, v4
	v_mov_b32_e32 v12, v8
	v_mov_b32_e32 v8, v17
	v_add_f32_e32 v14, v6, v5
.LBB34_39:
	s_or_b32 exec_lo, exec_lo, s6
	v_cmp_gt_u32_e32 vcc_lo, 24, v1
	v_add_nc_u32_e32 v17, 8, v1
	s_mov_b32 s6, exec_lo
	s_waitcnt lgkmcnt(4)
	v_cndmask_b32_e64 v3, 0, 1, vcc_lo
	s_delay_alu instid0(VALU_DEP_1) | instskip(SKIP_1) | instid1(VALU_DEP_1)
	v_lshlrev_b32_e32 v3, 3, v3
	s_waitcnt lgkmcnt(0)
	v_add_lshl_u32 v5, v3, v1, 2
	ds_bpermute_b32 v6, v5, v8
	ds_bpermute_b32 v15, v5, v9
	;; [unrolled: 1-line block ×7, first 2 shown]
	v_cmpx_lt_u32_e64 v17, v2
	s_cbranch_execz .LBB34_41
; %bb.40:
	s_waitcnt lgkmcnt(3)
	v_sub_f32_e32 v16, v16, v11
	v_cmp_gt_f32_e32 vcc_lo, v9, v15
	v_add_f32_e32 v17, v8, v6
	v_dual_mul_f32 v23, v8, v8 :: v_dual_mul_f32 v24, v6, v6
	s_delay_alu instid0(VALU_DEP_4) | instskip(SKIP_2) | instid1(VALU_DEP_4)
	v_dual_mul_f32 v20, v16, v16 :: v_dual_cndmask_b32 v9, v9, v15
	v_mul_f32_e32 v22, v12, v6
	v_sub_f32_e32 v19, v8, v6
	v_fma_f32 v31, -v8, v6, v23
	s_delay_alu instid0(VALU_DEP_4) | instskip(SKIP_2) | instid1(VALU_DEP_2)
	v_mul_f32_e32 v25, v8, v20
	s_waitcnt lgkmcnt(2)
	v_fma_f32 v22, v8, v7, -v22
	v_mul_f32_e32 v25, v25, v6
	v_mul_f32_e32 v15, v16, v6
	v_dual_add_f32 v18, v12, v7 :: v_dual_mul_f32 v29, 0x40400000, v16
	v_mul_f32_e32 v7, v23, v7
	s_delay_alu instid0(VALU_DEP_4) | instskip(NEXT) | instid1(VALU_DEP_4)
	v_div_scale_f32 v32, null, v17, v17, v25
	v_div_scale_f32 v21, null, v17, v17, v15
	v_div_scale_f32 v34, vcc_lo, v15, v17, v15
	s_delay_alu instid0(VALU_DEP_3) | instskip(NEXT) | instid1(VALU_DEP_2)
	v_rcp_f32_e32 v35, v32
	v_rcp_f32_e32 v26, v21
	v_div_scale_f32 v38, s0, v25, v17, v25
	v_fmac_f32_e32 v7, v12, v24
	v_fmac_f32_e32 v31, v6, v6
	s_waitcnt_depctr 0xfff
	v_fma_f32 v33, -v21, v26, 1.0
	v_mul_f32_e32 v27, v16, v20
	v_mul_f32_e32 v20, 0x40c00000, v20
	s_delay_alu instid0(VALU_DEP_3) | instskip(SKIP_2) | instid1(VALU_DEP_4)
	v_fmac_f32_e32 v26, v33, v26
	v_mul_f32_e32 v22, v29, v22
	v_fma_f32 v33, -v32, v35, 1.0
	v_mul_f32_e32 v7, v20, v7
	s_delay_alu instid0(VALU_DEP_4) | instskip(NEXT) | instid1(VALU_DEP_3)
	v_mul_f32_e32 v29, v34, v26
	v_fmac_f32_e32 v35, v33, v35
	s_delay_alu instid0(VALU_DEP_2) | instskip(NEXT) | instid1(VALU_DEP_1)
	v_fma_f32 v36, -v21, v29, v34
	v_fmac_f32_e32 v29, v36, v26
	s_delay_alu instid0(VALU_DEP_1) | instskip(NEXT) | instid1(VALU_DEP_4)
	v_fma_f32 v21, -v21, v29, v34
	v_mul_f32_e32 v34, v38, v35
	v_mul_f32_e32 v28, v17, v17
	;; [unrolled: 1-line block ×4, first 2 shown]
	v_div_scale_f32 v33, null, v17, v17, v22
	s_delay_alu instid0(VALU_DEP_4) | instskip(SKIP_2) | instid1(VALU_DEP_4)
	v_mul_f32_e32 v23, v17, v28
	v_div_fmas_f32 v21, v21, v26, v29
	v_mul_f32_e32 v30, v30, v6
	v_rcp_f32_e32 v26, v33
	v_fma_f32 v29, -v32, v34, v38
	v_dual_mul_f32 v27, v8, v27 :: v_dual_mul_f32 v16, 4.0, v16
	v_div_fixup_f32 v15, v21, v17, v15
	s_mov_b32 vcc_lo, s0
	s_delay_alu instid0(VALU_DEP_1) | instskip(SKIP_2) | instid1(VALU_DEP_1)
	v_add_f32_e32 v11, v11, v15
	s_waitcnt_depctr 0xfff
	v_fma_f32 v24, -v33, v26, 1.0
	v_fmac_f32_e32 v26, v24, v26
	v_dual_mul_f32 v19, v19, v30 :: v_dual_fmac_f32 v34, v29, v35
	v_div_scale_f32 v29, s2, v22, v17, v22
	s_delay_alu instid0(VALU_DEP_2) | instskip(SKIP_1) | instid1(VALU_DEP_2)
	v_div_scale_f32 v30, null, v28, v28, v19
	v_div_scale_f32 v12, s1, v19, v28, v19
	v_rcp_f32_e32 v37, v30
	s_waitcnt_depctr 0xfff
	v_fma_f32 v36, -v30, v37, 1.0
	s_delay_alu instid0(VALU_DEP_1) | instskip(NEXT) | instid1(VALU_DEP_1)
	v_fmac_f32_e32 v37, v36, v37
	v_dual_mul_f32 v20, v12, v37 :: v_dual_mul_f32 v27, v27, v6
	v_mul_f32_e32 v6, v13, v6
	s_waitcnt lgkmcnt(1)
	s_delay_alu instid0(VALU_DEP_1)
	v_fma_f32 v6, v8, v4, -v6
	v_fma_f32 v8, -v32, v34, v38
	v_fma_f32 v32, -v30, v20, v12
	v_mul_f32_e32 v38, v29, v26
	v_add_f32_e32 v4, v13, v4
	v_div_scale_f32 v24, null, v28, v28, v7
	s_delay_alu instid0(VALU_DEP_4) | instskip(SKIP_1) | instid1(VALU_DEP_3)
	v_dual_fmac_f32 v20, v32, v37 :: v_dual_mul_f32 v27, v31, v27
	v_div_fmas_f32 v8, v8, v35, v34
	v_rcp_f32_e32 v39, v24
	v_fma_f32 v32, -v33, v38, v29
	s_delay_alu instid0(VALU_DEP_3) | instskip(SKIP_3) | instid1(VALU_DEP_3)
	v_fma_f32 v12, -v30, v20, v12
	v_div_scale_f32 v21, null, v23, v23, v27
	v_div_fixup_f32 v8, v8, v17, v25
	v_div_scale_f32 v42, s4, v7, v28, v7
	v_rcp_f32_e32 v31, v21
	s_mov_b32 vcc_lo, s1
	s_delay_alu instid0(VALU_DEP_2) | instskip(SKIP_2) | instid1(VALU_DEP_1)
	v_add_f32_e32 v8, v18, v8
	s_waitcnt_depctr 0xfff
	v_fma_f32 v36, -v21, v31, 1.0
	v_fmac_f32_e32 v31, v36, v31
	v_mul_f32_e32 v6, v16, v6
	v_div_scale_f32 v16, s3, v27, v23, v27
	v_fma_f32 v36, -v24, v39, 1.0
	s_delay_alu instid0(VALU_DEP_2) | instskip(NEXT) | instid1(VALU_DEP_2)
	v_mul_f32_e32 v41, v16, v31
	v_fmac_f32_e32 v39, v36, v39
	s_delay_alu instid0(VALU_DEP_2) | instskip(NEXT) | instid1(VALU_DEP_1)
	v_fma_f32 v30, -v21, v41, v16
	v_fmac_f32_e32 v41, v30, v31
	v_div_scale_f32 v40, null, v17, v17, v6
	v_div_scale_f32 v30, s0, v6, v17, v6
	s_delay_alu instid0(VALU_DEP_3) | instskip(NEXT) | instid1(VALU_DEP_3)
	v_fma_f32 v16, -v21, v41, v16
	v_rcp_f32_e32 v36, v40
	s_waitcnt_depctr 0xfff
	v_fma_f32 v34, -v40, v36, 1.0
	s_delay_alu instid0(VALU_DEP_1)
	v_fmac_f32_e32 v36, v34, v36
	v_fmac_f32_e32 v38, v32, v26
	v_mul_f32_e32 v32, v42, v39
	v_div_fmas_f32 v12, v12, v37, v20
	s_mov_b32 vcc_lo, s2
	v_mul_f32_e32 v21, v30, v36
	v_fma_f32 v20, -v33, v38, v29
	v_fma_f32 v29, -v24, v32, v42
	v_div_fixup_f32 v12, v12, v28, v19
	s_waitcnt lgkmcnt(0)
	v_add_f32_e32 v5, v14, v5
	v_div_fmas_f32 v20, v20, v26, v38
	v_fmac_f32_e32 v32, v29, v39
	v_add_f32_e32 v4, v4, v12
	v_fma_f32 v26, -v40, v21, v30
	s_mov_b32 vcc_lo, s3
	v_div_fixup_f32 v12, v20, v17, v22
	v_div_fmas_f32 v16, v16, v31, v41
	v_fma_f32 v14, -v24, v32, v42
	v_fmac_f32_e32 v21, v26, v36
	s_mov_b32 vcc_lo, s4
	s_delay_alu instid0(VALU_DEP_3) | instskip(NEXT) | instid1(VALU_DEP_3)
	v_div_fixup_f32 v16, v16, v23, v27
	v_div_fmas_f32 v14, v14, v39, v32
	s_delay_alu instid0(VALU_DEP_3) | instskip(SKIP_1) | instid1(VALU_DEP_2)
	v_fma_f32 v13, -v40, v21, v30
	s_mov_b32 vcc_lo, s0
	v_div_fixup_f32 v7, v14, v28, v7
	s_delay_alu instid0(VALU_DEP_2) | instskip(SKIP_2) | instid1(VALU_DEP_3)
	v_div_fmas_f32 v13, v13, v36, v21
	v_cmp_lt_f32_e32 vcc_lo, v10, v3
	v_add_f32_e32 v5, v5, v16
	v_div_fixup_f32 v6, v13, v17, v6
	s_delay_alu instid0(VALU_DEP_2) | instskip(SKIP_3) | instid1(VALU_DEP_4)
	v_dual_cndmask_b32 v10, v10, v3 :: v_dual_add_f32 v5, v7, v5
	v_add_f32_e32 v13, v12, v4
	v_mov_b32_e32 v12, v8
	v_mov_b32_e32 v8, v17
	v_add_f32_e32 v14, v6, v5
.LBB34_41:
	s_or_b32 exec_lo, exec_lo, s6
	v_cmp_gt_u32_e32 vcc_lo, 16, v1
	v_add_nc_u32_e32 v17, 16, v1
	s_mov_b32 s6, exec_lo
	s_waitcnt lgkmcnt(4)
	v_cndmask_b32_e64 v3, 0, 1, vcc_lo
	s_delay_alu instid0(VALU_DEP_1) | instskip(SKIP_1) | instid1(VALU_DEP_1)
	v_lshlrev_b32_e32 v3, 4, v3
	s_waitcnt lgkmcnt(0)
	v_add_lshl_u32 v5, v3, v1, 2
	ds_bpermute_b32 v6, v5, v8
	ds_bpermute_b32 v15, v5, v9
	;; [unrolled: 1-line block ×7, first 2 shown]
	v_cmpx_lt_u32_e64 v17, v2
	s_cbranch_execz .LBB34_43
; %bb.42:
	s_waitcnt lgkmcnt(3)
	v_dual_sub_f32 v2, v16, v11 :: v_dual_mul_f32 v23, v6, v6
	v_cmp_gt_f32_e32 vcc_lo, v9, v15
	v_add_f32_e32 v16, v8, v6
	s_waitcnt lgkmcnt(2)
	s_delay_alu instid0(VALU_DEP_3)
	v_dual_add_f32 v17, v12, v7 :: v_dual_mul_f32 v28, 0x40400000, v2
	v_dual_mul_f32 v22, v8, v8 :: v_dual_cndmask_b32 v9, v9, v15
	v_mul_f32_e32 v15, v2, v6
	v_sub_f32_e32 v18, v8, v6
	v_mul_f32_e32 v27, v16, v16
	v_mul_f32_e32 v19, v2, v2
	;; [unrolled: 1-line block ×3, first 2 shown]
	v_div_scale_f32 v20, null, v16, v16, v15
	v_fma_f32 v30, -v8, v6, v22
	v_div_scale_f32 v33, vcc_lo, v15, v16, v15
	s_delay_alu instid0(VALU_DEP_3) | instskip(SKIP_4) | instid1(VALU_DEP_4)
	v_rcp_f32_e32 v25, v20
	v_fma_f32 v21, v8, v7, -v21
	v_mul_f32_e32 v7, v22, v7
	v_mul_f32_e32 v22, v16, v27
	;; [unrolled: 1-line block ×3, first 2 shown]
	v_dual_fmac_f32 v30, v6, v6 :: v_dual_mul_f32 v21, v28, v21
	s_delay_alu instid0(VALU_DEP_4) | instskip(SKIP_2) | instid1(TRANS32_DEP_1)
	v_fmac_f32_e32 v7, v12, v23
	s_waitcnt lgkmcnt(0)
	v_add_f32_e32 v5, v14, v5
	v_fma_f32 v32, -v20, v25, 1.0
	s_delay_alu instid0(VALU_DEP_1) | instskip(SKIP_2) | instid1(VALU_DEP_3)
	v_fmac_f32_e32 v25, v32, v25
	v_mul_f32_e32 v29, v8, v26
	v_mul_f32_e32 v26, v2, v26
	;; [unrolled: 1-line block ×3, first 2 shown]
	s_delay_alu instid0(VALU_DEP_3) | instskip(NEXT) | instid1(VALU_DEP_3)
	v_dual_mul_f32 v24, v8, v19 :: v_dual_mul_f32 v29, v29, v6
	v_dual_mul_f32 v19, 0x40c00000, v19 :: v_dual_mul_f32 v26, v8, v26
	s_delay_alu instid0(VALU_DEP_3) | instskip(NEXT) | instid1(VALU_DEP_3)
	v_fma_f32 v35, -v20, v28, v33
	v_mul_f32_e32 v24, v24, v6
	s_delay_alu instid0(VALU_DEP_3) | instskip(NEXT) | instid1(VALU_DEP_2)
	v_dual_mul_f32 v18, v18, v29 :: v_dual_mul_f32 v7, v19, v7
	v_div_scale_f32 v31, null, v16, v16, v24
	s_delay_alu instid0(VALU_DEP_2) | instskip(SKIP_1) | instid1(VALU_DEP_3)
	v_div_scale_f32 v29, null, v27, v27, v18
	v_div_scale_f32 v37, s0, v24, v16, v24
	v_rcp_f32_e32 v34, v31
	s_delay_alu instid0(VALU_DEP_2) | instskip(SKIP_4) | instid1(VALU_DEP_1)
	v_rcp_f32_e32 v36, v29
	v_div_scale_f32 v12, s1, v18, v27, v18
	v_div_scale_f32 v41, s4, v7, v27, v7
	s_waitcnt_depctr 0xfff
	v_fma_f32 v32, -v31, v34, 1.0
	v_fmac_f32_e32 v34, v32, v34
	v_fmac_f32_e32 v28, v35, v25
	v_div_scale_f32 v32, null, v16, v16, v21
	v_fma_f32 v35, -v29, v36, 1.0
	s_delay_alu instid0(VALU_DEP_3) | instskip(NEXT) | instid1(VALU_DEP_2)
	v_fma_f32 v20, -v20, v28, v33
	v_dual_mul_f32 v33, v37, v34 :: v_dual_fmac_f32 v36, v35, v36
	v_mul_f32_e32 v26, v26, v6
	s_delay_alu instid0(VALU_DEP_3) | instskip(SKIP_1) | instid1(VALU_DEP_3)
	v_div_fmas_f32 v20, v20, v25, v28
	v_rcp_f32_e32 v25, v32
	v_fma_f32 v28, -v31, v33, v37
	v_dual_mul_f32 v19, v12, v36 :: v_dual_mul_f32 v6, v13, v6
	s_delay_alu instid0(VALU_DEP_3) | instskip(SKIP_1) | instid1(VALU_DEP_2)
	v_div_fixup_f32 v15, v20, v16, v15
	s_mov_b32 vcc_lo, s0
	v_fma_f32 v6, v8, v4, -v6
	v_add_f32_e32 v4, v13, v4
	s_waitcnt_depctr 0xfff
	v_fma_f32 v23, -v32, v25, 1.0
	v_add_f32_e32 v11, v11, v15
	s_delay_alu instid0(VALU_DEP_2) | instskip(SKIP_4) | instid1(VALU_DEP_4)
	v_fmac_f32_e32 v25, v23, v25
	v_fmac_f32_e32 v33, v28, v34
	v_div_scale_f32 v28, s2, v21, v16, v21
	v_mul_f32_e32 v26, v30, v26
	v_div_scale_f32 v23, null, v27, v27, v7
	v_fma_f32 v8, -v31, v33, v37
	s_delay_alu instid0(VALU_DEP_4) | instskip(NEXT) | instid1(VALU_DEP_4)
	v_mul_f32_e32 v37, v28, v25
	v_div_scale_f32 v20, null, v22, v22, v26
	v_fma_f32 v31, -v29, v19, v12
	v_rcp_f32_e32 v38, v23
	v_div_fmas_f32 v8, v8, v34, v33
	s_delay_alu instid0(VALU_DEP_3)
	v_rcp_f32_e32 v30, v20
	s_mov_b32 vcc_lo, s1
	v_fmac_f32_e32 v19, v31, v36
	v_fma_f32 v31, -v32, v37, v28
	v_mul_f32_e32 v2, 4.0, v2
	v_div_fixup_f32 v8, v8, v16, v24
	s_delay_alu instid0(VALU_DEP_4) | instskip(NEXT) | instid1(VALU_DEP_4)
	v_fma_f32 v12, -v29, v19, v12
	v_fmac_f32_e32 v37, v31, v25
	s_delay_alu instid0(TRANS32_DEP_1) | instskip(NEXT) | instid1(VALU_DEP_4)
	v_fma_f32 v35, -v20, v30, 1.0
	v_add_f32_e32 v8, v17, v8
	s_delay_alu instid0(VALU_DEP_4) | instskip(NEXT) | instid1(VALU_DEP_4)
	v_div_fmas_f32 v12, v12, v36, v19
	v_fma_f32 v19, -v32, v37, v28
	s_mov_b32 vcc_lo, s2
	v_fmac_f32_e32 v30, v35, v30
	v_fma_f32 v35, -v23, v38, 1.0
	v_div_fixup_f32 v12, v12, v27, v18
	v_div_fmas_f32 v19, v19, v25, v37
	s_delay_alu instid0(VALU_DEP_3) | instskip(NEXT) | instid1(VALU_DEP_3)
	v_fmac_f32_e32 v38, v35, v38
	v_add_f32_e32 v4, v4, v12
	s_delay_alu instid0(VALU_DEP_3) | instskip(SKIP_4) | instid1(VALU_DEP_3)
	v_div_fixup_f32 v12, v19, v16, v21
	v_mul_f32_e32 v2, v2, v6
	v_div_scale_f32 v6, s3, v26, v22, v26
	v_mul_f32_e32 v31, v41, v38
	s_mov_b32 vcc_lo, s3
	v_div_scale_f32 v39, null, v16, v16, v2
	s_delay_alu instid0(VALU_DEP_2) | instskip(NEXT) | instid1(VALU_DEP_2)
	v_fma_f32 v28, -v23, v31, v41
	v_rcp_f32_e32 v35, v39
	s_waitcnt_depctr 0xfff
	v_fma_f32 v33, -v39, v35, 1.0
	s_delay_alu instid0(VALU_DEP_1) | instskip(NEXT) | instid1(VALU_DEP_1)
	v_dual_fmac_f32 v35, v33, v35 :: v_dual_mul_f32 v40, v6, v30
	v_fma_f32 v29, -v20, v40, v6
	s_delay_alu instid0(VALU_DEP_1) | instskip(SKIP_1) | instid1(VALU_DEP_2)
	v_fmac_f32_e32 v40, v29, v30
	v_div_scale_f32 v29, s0, v2, v16, v2
	v_fma_f32 v6, -v20, v40, v6
	s_delay_alu instid0(VALU_DEP_2) | instskip(NEXT) | instid1(VALU_DEP_2)
	v_mul_f32_e32 v20, v29, v35
	v_div_fmas_f32 v6, v6, v30, v40
	s_delay_alu instid0(VALU_DEP_2) | instskip(SKIP_2) | instid1(VALU_DEP_3)
	v_fma_f32 v25, -v39, v20, v29
	v_fmac_f32_e32 v31, v28, v38
	s_mov_b32 vcc_lo, s4
	v_div_fixup_f32 v6, v6, v22, v26
	s_delay_alu instid0(VALU_DEP_3) | instskip(NEXT) | instid1(VALU_DEP_3)
	v_fmac_f32_e32 v20, v25, v35
	v_fma_f32 v14, -v23, v31, v41
	s_delay_alu instid0(VALU_DEP_3) | instskip(NEXT) | instid1(VALU_DEP_3)
	v_add_f32_e32 v5, v5, v6
	v_fma_f32 v13, -v39, v20, v29
	s_delay_alu instid0(VALU_DEP_3) | instskip(SKIP_1) | instid1(VALU_DEP_1)
	v_div_fmas_f32 v14, v14, v38, v31
	s_mov_b32 vcc_lo, s0
	v_div_fixup_f32 v6, v14, v27, v7
	s_delay_alu instid0(VALU_DEP_3)
	v_div_fmas_f32 v7, v13, v35, v20
	v_cmp_lt_f32_e32 vcc_lo, v10, v3
	v_add_f32_e32 v13, v12, v4
	v_mov_b32_e32 v12, v8
	v_mov_b32_e32 v8, v16
	v_div_fixup_f32 v2, v7, v16, v2
	v_cndmask_b32_e32 v10, v10, v3, vcc_lo
	v_add_f32_e32 v5, v6, v5
	s_delay_alu instid0(VALU_DEP_1)
	v_add_f32_e32 v14, v2, v5
.LBB34_43:
	s_or_b32 exec_lo, exec_lo, s6
	s_delay_alu instid0(SALU_CYCLE_1)
	s_mov_b32 s0, exec_lo
	v_cmpx_eq_u32_e32 0, v1
	s_cbranch_execz .LBB34_45
; %bb.44:
	v_lshrrev_b32_e32 v2, 5, v0
	s_delay_alu instid0(VALU_DEP_1)
	v_mul_u32_u24_e32 v2, 28, v2
	ds_store_2addr_b32 v2, v8, v9 offset1:1
	ds_store_2addr_b32 v2, v10, v11 offset0:2 offset1:3
	ds_store_2addr_b32 v2, v12, v13 offset0:4 offset1:5
	ds_store_b32 v2, v14 offset:24
.LBB34_45:
	s_or_b32 exec_lo, exec_lo, s0
	s_delay_alu instid0(SALU_CYCLE_1)
	s_mov_b32 s6, exec_lo
	s_waitcnt lgkmcnt(0)
	s_barrier
	buffer_gl0_inv
	v_cmpx_gt_u32_e32 8, v0
	s_cbranch_execz .LBB34_53
; %bb.46:
	v_mul_u32_u24_e32 v3, 28, v1
	s_add_i32 s5, s5, 31
	ds_load_2addr_b32 v[8:9], v3 offset1:1
	ds_load_2addr_b32 v[10:11], v3 offset0:2 offset1:3
	ds_load_2addr_b32 v[12:13], v3 offset0:4 offset1:5
	ds_load_b32 v14, v3 offset:24
	v_and_b32_e32 v2, 7, v1
	s_lshr_b32 s5, s5, 5
	s_waitcnt lgkmcnt(1)
	v_mov_b32_e32 v17, v13
	s_delay_alu instid0(VALU_DEP_2) | instskip(SKIP_2) | instid1(VALU_DEP_1)
	v_cmp_ne_u32_e32 vcc_lo, 7, v2
	v_mov_b32_e32 v16, v12
	v_add_co_ci_u32_e32 v3, vcc_lo, 0, v1, vcc_lo
	v_lshlrev_b32_e32 v3, 2, v3
	ds_bpermute_b32 v7, v3, v8
	ds_bpermute_b32 v18, v3, v9
	;; [unrolled: 1-line block ×6, first 2 shown]
	s_waitcnt lgkmcnt(6)
	ds_bpermute_b32 v6, v3, v14
	v_add_nc_u32_e32 v3, 1, v2
	s_delay_alu instid0(VALU_DEP_1)
	v_cmp_gt_u32_e32 vcc_lo, s5, v3
	v_mov_b32_e32 v3, v8
	s_and_saveexec_b32 s19, vcc_lo
	s_cbranch_execz .LBB34_48
; %bb.47:
	s_waitcnt lgkmcnt(5)
	v_cmp_gt_f32_e32 vcc_lo, v9, v18
	s_waitcnt lgkmcnt(3)
	v_sub_f32_e32 v16, v19, v11
	v_add_f32_e32 v3, v8, v7
	v_dual_mul_f32 v23, v8, v8 :: v_dual_mul_f32 v24, v7, v7
	s_delay_alu instid0(VALU_DEP_3) | instskip(SKIP_2) | instid1(VALU_DEP_3)
	v_dual_cndmask_b32 v9, v9, v18 :: v_dual_mul_f32 v20, v16, v16
	s_waitcnt lgkmcnt(2)
	v_dual_add_f32 v18, v12, v15 :: v_dual_mul_f32 v29, 0x40400000, v16
	v_fma_f32 v31, -v8, v7, v23
	s_waitcnt lgkmcnt(0)
	v_dual_add_f32 v6, v14, v6 :: v_dual_mul_f32 v25, v8, v20
	s_delay_alu instid0(VALU_DEP_1) | instskip(SKIP_2) | instid1(VALU_DEP_2)
	v_mul_f32_e32 v25, v25, v7
	v_mul_f32_e32 v27, v16, v20
	v_dual_sub_f32 v19, v8, v7 :: v_dual_mul_f32 v20, 0x40c00000, v20
	v_mul_f32_e32 v30, v8, v27
	s_delay_alu instid0(VALU_DEP_1) | instskip(SKIP_2) | instid1(VALU_DEP_3)
	v_mul_f32_e32 v30, v30, v7
	v_mul_f32_e32 v22, v12, v7
	;; [unrolled: 1-line block ×4, first 2 shown]
	s_delay_alu instid0(VALU_DEP_3) | instskip(SKIP_1) | instid1(VALU_DEP_2)
	v_fma_f32 v22, v8, v15, -v22
	v_dual_mul_f32 v17, v16, v7 :: v_dual_mul_f32 v16, 4.0, v16
	v_dual_mul_f32 v27, v8, v27 :: v_dual_mul_f32 v22, v29, v22
	s_delay_alu instid0(VALU_DEP_2) | instskip(NEXT) | instid1(VALU_DEP_1)
	v_div_scale_f32 v21, null, v3, v3, v17
	v_rcp_f32_e32 v26, v21
	s_waitcnt_depctr 0xfff
	v_fma_f32 v33, -v21, v26, 1.0
	s_delay_alu instid0(VALU_DEP_1) | instskip(SKIP_3) | instid1(VALU_DEP_3)
	v_fmac_f32_e32 v26, v33, v26
	v_div_scale_f32 v32, null, v3, v3, v25
	v_div_scale_f32 v34, vcc_lo, v17, v3, v17
	v_mul_f32_e32 v28, v3, v3
	v_rcp_f32_e32 v35, v32
	v_div_scale_f32 v38, s0, v25, v3, v25
	s_delay_alu instid0(VALU_DEP_3) | instskip(NEXT) | instid1(VALU_DEP_3)
	v_mul_f32_e32 v29, v34, v26
	v_div_scale_f32 v30, null, v28, v28, v19
	s_delay_alu instid0(VALU_DEP_2) | instskip(NEXT) | instid1(VALU_DEP_2)
	v_fma_f32 v36, -v21, v29, v34
	v_rcp_f32_e32 v37, v30
	s_waitcnt_depctr 0xfff
	v_fma_f32 v33, -v32, v35, 1.0
	s_delay_alu instid0(VALU_DEP_1) | instskip(SKIP_3) | instid1(VALU_DEP_3)
	v_fmac_f32_e32 v35, v33, v35
	v_fmac_f32_e32 v29, v36, v26
	v_div_scale_f32 v33, null, v3, v3, v22
	v_fma_f32 v36, -v30, v37, 1.0
	v_fma_f32 v21, -v21, v29, v34
	v_mul_f32_e32 v34, v38, v35
	s_delay_alu instid0(VALU_DEP_2) | instskip(SKIP_1) | instid1(VALU_DEP_2)
	v_div_fmas_f32 v21, v21, v26, v29
	v_rcp_f32_e32 v26, v33
	v_fma_f32 v29, -v32, v34, v38
	v_fmac_f32_e32 v37, v36, v37
	s_mov_b32 vcc_lo, s0
	v_div_fixup_f32 v21, v21, v3, v17
	s_delay_alu instid0(VALU_DEP_3) | instskip(SKIP_4) | instid1(VALU_DEP_4)
	v_fmac_f32_e32 v34, v29, v35
	v_mul_f32_e32 v15, v23, v15
	v_div_scale_f32 v29, s2, v22, v3, v22
	v_mul_f32_e32 v23, v3, v28
	v_add_f32_e32 v11, v11, v21
	v_fmac_f32_e32 v15, v12, v24
	v_div_scale_f32 v12, s1, v19, v28, v19
	v_fma_f32 v24, -v33, v26, 1.0
	v_fmac_f32_e32 v31, v7, v7
	s_delay_alu instid0(VALU_DEP_4) | instskip(NEXT) | instid1(VALU_DEP_4)
	v_mul_f32_e32 v15, v20, v15
	v_mul_f32_e32 v20, v12, v37
	s_delay_alu instid0(VALU_DEP_4) | instskip(SKIP_1) | instid1(VALU_DEP_1)
	v_dual_fmac_f32 v26, v24, v26 :: v_dual_mul_f32 v27, v27, v7
	v_mul_f32_e32 v7, v13, v7
	v_fma_f32 v7, v8, v5, -v7
	v_fma_f32 v8, -v32, v34, v38
	v_fma_f32 v32, -v30, v20, v12
	v_mul_f32_e32 v38, v29, v26
	v_add_f32_e32 v5, v13, v5
	v_mul_f32_e32 v7, v16, v7
	s_delay_alu instid0(VALU_DEP_4) | instskip(NEXT) | instid1(VALU_DEP_4)
	v_fmac_f32_e32 v20, v32, v37
	v_fma_f32 v32, -v33, v38, v29
	v_div_fmas_f32 v8, v8, v35, v34
	s_mov_b32 vcc_lo, s1
	v_div_scale_f32 v40, null, v3, v3, v7
	s_delay_alu instid0(VALU_DEP_3) | instskip(SKIP_2) | instid1(VALU_DEP_3)
	v_dual_fmac_f32 v38, v32, v26 :: v_dual_mul_f32 v27, v31, v27
	v_fma_f32 v12, -v30, v20, v12
	v_div_fixup_f32 v8, v8, v3, v25
	v_div_scale_f32 v17, null, v23, v23, v27
	v_div_scale_f32 v16, s3, v27, v23, v27
	s_delay_alu instid0(VALU_DEP_4) | instskip(NEXT) | instid1(VALU_DEP_3)
	v_div_fmas_f32 v12, v12, v37, v20
	v_rcp_f32_e32 v31, v17
	v_fma_f32 v20, -v33, v38, v29
	s_mov_b32 vcc_lo, s2
	s_delay_alu instid0(VALU_DEP_2) | instskip(NEXT) | instid1(VALU_DEP_2)
	v_div_fixup_f32 v12, v12, v28, v19
	v_div_fmas_f32 v20, v20, v26, v38
	s_mov_b32 vcc_lo, s3
	s_delay_alu instid0(VALU_DEP_2) | instskip(SKIP_2) | instid1(VALU_DEP_1)
	v_add_f32_e32 v5, v5, v12
	s_waitcnt_depctr 0xfff
	v_fma_f32 v36, -v17, v31, 1.0
	v_fmac_f32_e32 v31, v36, v31
	s_delay_alu instid0(VALU_DEP_1) | instskip(NEXT) | instid1(VALU_DEP_1)
	v_mul_f32_e32 v41, v16, v31
	v_fma_f32 v30, -v17, v41, v16
	s_delay_alu instid0(VALU_DEP_1) | instskip(SKIP_1) | instid1(VALU_DEP_2)
	v_fmac_f32_e32 v41, v30, v31
	v_div_scale_f32 v30, s0, v7, v3, v7
	v_fma_f32 v16, -v17, v41, v16
	s_delay_alu instid0(VALU_DEP_1) | instskip(NEXT) | instid1(VALU_DEP_1)
	v_div_fmas_f32 v16, v16, v31, v41
	v_div_fixup_f32 v16, v16, v23, v27
	s_delay_alu instid0(VALU_DEP_1) | instskip(SKIP_2) | instid1(VALU_DEP_1)
	v_add_f32_e32 v6, v6, v16
	v_div_scale_f32 v24, null, v28, v28, v15
	v_div_scale_f32 v42, s4, v15, v28, v15
	s_mov_b32 vcc_lo, s4
	s_delay_alu instid0(VALU_DEP_2) | instskip(SKIP_2) | instid1(VALU_DEP_2)
	v_rcp_f32_e32 v39, v24
	v_add_f32_e32 v16, v18, v8
	v_div_fixup_f32 v8, v20, v3, v22
	v_mov_b32_e32 v12, v16
	s_waitcnt_depctr 0xfff
	v_fma_f32 v36, -v24, v39, 1.0
	s_delay_alu instid0(VALU_DEP_1) | instskip(SKIP_1) | instid1(VALU_DEP_1)
	v_fmac_f32_e32 v39, v36, v39
	v_rcp_f32_e32 v36, v40
	v_mul_f32_e32 v32, v42, v39
	s_delay_alu instid0(VALU_DEP_1) | instskip(SKIP_3) | instid1(VALU_DEP_2)
	v_fma_f32 v29, -v24, v32, v42
	s_waitcnt_depctr 0xfff
	v_fma_f32 v34, -v40, v36, 1.0
	v_fmac_f32_e32 v32, v29, v39
	v_fmac_f32_e32 v36, v34, v36
	s_delay_alu instid0(VALU_DEP_2) | instskip(NEXT) | instid1(VALU_DEP_2)
	v_fma_f32 v14, -v24, v32, v42
	v_mul_f32_e32 v17, v30, v36
	s_delay_alu instid0(VALU_DEP_2) | instskip(NEXT) | instid1(VALU_DEP_2)
	v_div_fmas_f32 v14, v14, v39, v32
	v_fma_f32 v26, -v40, v17, v30
	s_mov_b32 vcc_lo, s0
	s_delay_alu instid0(VALU_DEP_2) | instskip(NEXT) | instid1(VALU_DEP_2)
	v_div_fixup_f32 v14, v14, v28, v15
	v_fmac_f32_e32 v17, v26, v36
	s_delay_alu instid0(VALU_DEP_2) | instskip(NEXT) | instid1(VALU_DEP_2)
	v_add_f32_e32 v6, v14, v6
	v_fma_f32 v13, -v40, v17, v30
	s_delay_alu instid0(VALU_DEP_1) | instskip(SKIP_3) | instid1(VALU_DEP_4)
	v_div_fmas_f32 v13, v13, v36, v17
	v_cmp_lt_f32_e32 vcc_lo, v10, v4
	v_dual_add_f32 v17, v8, v5 :: v_dual_mov_b32 v8, v3
	v_cndmask_b32_e32 v10, v10, v4, vcc_lo
	v_div_fixup_f32 v7, v13, v3, v7
	s_delay_alu instid0(VALU_DEP_1)
	v_dual_mov_b32 v13, v17 :: v_dual_add_f32 v14, v7, v6
.LBB34_48:
	s_or_b32 exec_lo, exec_lo, s19
	v_cmp_gt_u32_e32 vcc_lo, 6, v2
	v_add_nc_u32_e32 v20, 2, v2
	s_mov_b32 s19, exec_lo
	s_waitcnt lgkmcnt(4)
	v_cndmask_b32_e64 v4, 0, 1, vcc_lo
	s_delay_alu instid0(VALU_DEP_1) | instskip(SKIP_1) | instid1(VALU_DEP_1)
	v_lshlrev_b32_e32 v4, 1, v4
	s_waitcnt lgkmcnt(0)
	v_add_lshl_u32 v6, v4, v1, 2
	ds_bpermute_b32 v7, v6, v3
	ds_bpermute_b32 v18, v6, v9
	;; [unrolled: 1-line block ×7, first 2 shown]
	v_cmpx_gt_u32_e64 s5, v20
	s_cbranch_execz .LBB34_50
; %bb.49:
	s_waitcnt lgkmcnt(5)
	v_cmp_gt_f32_e32 vcc_lo, v9, v18
	s_waitcnt lgkmcnt(3)
	v_sub_f32_e32 v16, v19, v11
	v_add_f32_e32 v3, v8, v7
	v_dual_mul_f32 v23, v8, v8 :: v_dual_mul_f32 v24, v7, v7
	s_delay_alu instid0(VALU_DEP_3) | instskip(SKIP_2) | instid1(VALU_DEP_3)
	v_dual_cndmask_b32 v9, v9, v18 :: v_dual_mul_f32 v20, v16, v16
	s_waitcnt lgkmcnt(2)
	v_dual_add_f32 v18, v12, v15 :: v_dual_mul_f32 v29, 0x40400000, v16
	v_fma_f32 v31, -v8, v7, v23
	s_waitcnt lgkmcnt(0)
	v_dual_add_f32 v6, v14, v6 :: v_dual_mul_f32 v25, v8, v20
	s_delay_alu instid0(VALU_DEP_1) | instskip(SKIP_2) | instid1(VALU_DEP_2)
	v_mul_f32_e32 v25, v25, v7
	v_mul_f32_e32 v27, v16, v20
	v_dual_sub_f32 v19, v8, v7 :: v_dual_mul_f32 v20, 0x40c00000, v20
	v_mul_f32_e32 v30, v8, v27
	s_delay_alu instid0(VALU_DEP_1) | instskip(SKIP_2) | instid1(VALU_DEP_3)
	v_mul_f32_e32 v30, v30, v7
	v_mul_f32_e32 v22, v12, v7
	;; [unrolled: 1-line block ×4, first 2 shown]
	s_delay_alu instid0(VALU_DEP_3) | instskip(SKIP_1) | instid1(VALU_DEP_2)
	v_fma_f32 v22, v8, v15, -v22
	v_dual_mul_f32 v17, v16, v7 :: v_dual_mul_f32 v16, 4.0, v16
	v_dual_mul_f32 v27, v8, v27 :: v_dual_mul_f32 v22, v29, v22
	s_delay_alu instid0(VALU_DEP_2) | instskip(NEXT) | instid1(VALU_DEP_1)
	v_div_scale_f32 v21, null, v3, v3, v17
	v_rcp_f32_e32 v26, v21
	s_waitcnt_depctr 0xfff
	v_fma_f32 v33, -v21, v26, 1.0
	s_delay_alu instid0(VALU_DEP_1) | instskip(SKIP_3) | instid1(VALU_DEP_3)
	v_fmac_f32_e32 v26, v33, v26
	v_div_scale_f32 v32, null, v3, v3, v25
	v_div_scale_f32 v34, vcc_lo, v17, v3, v17
	v_mul_f32_e32 v28, v3, v3
	v_rcp_f32_e32 v35, v32
	v_div_scale_f32 v38, s0, v25, v3, v25
	s_delay_alu instid0(VALU_DEP_3) | instskip(NEXT) | instid1(VALU_DEP_3)
	v_mul_f32_e32 v29, v34, v26
	v_div_scale_f32 v30, null, v28, v28, v19
	s_delay_alu instid0(VALU_DEP_2) | instskip(NEXT) | instid1(VALU_DEP_2)
	v_fma_f32 v36, -v21, v29, v34
	v_rcp_f32_e32 v37, v30
	s_waitcnt_depctr 0xfff
	v_fma_f32 v33, -v32, v35, 1.0
	s_delay_alu instid0(VALU_DEP_1) | instskip(SKIP_3) | instid1(VALU_DEP_3)
	v_fmac_f32_e32 v35, v33, v35
	v_fmac_f32_e32 v29, v36, v26
	v_div_scale_f32 v33, null, v3, v3, v22
	v_fma_f32 v36, -v30, v37, 1.0
	v_fma_f32 v21, -v21, v29, v34
	v_mul_f32_e32 v34, v38, v35
	s_delay_alu instid0(VALU_DEP_2) | instskip(SKIP_1) | instid1(VALU_DEP_2)
	v_div_fmas_f32 v21, v21, v26, v29
	v_rcp_f32_e32 v26, v33
	v_fma_f32 v29, -v32, v34, v38
	v_fmac_f32_e32 v37, v36, v37
	s_mov_b32 vcc_lo, s0
	v_div_fixup_f32 v21, v21, v3, v17
	s_delay_alu instid0(VALU_DEP_3) | instskip(SKIP_4) | instid1(VALU_DEP_4)
	v_fmac_f32_e32 v34, v29, v35
	v_mul_f32_e32 v15, v23, v15
	v_div_scale_f32 v29, s2, v22, v3, v22
	v_mul_f32_e32 v23, v3, v28
	v_add_f32_e32 v11, v11, v21
	v_fmac_f32_e32 v15, v12, v24
	v_div_scale_f32 v12, s1, v19, v28, v19
	v_fma_f32 v24, -v33, v26, 1.0
	v_fmac_f32_e32 v31, v7, v7
	s_delay_alu instid0(VALU_DEP_4) | instskip(NEXT) | instid1(VALU_DEP_4)
	v_mul_f32_e32 v15, v20, v15
	v_mul_f32_e32 v20, v12, v37
	s_delay_alu instid0(VALU_DEP_4) | instskip(SKIP_1) | instid1(VALU_DEP_1)
	v_dual_fmac_f32 v26, v24, v26 :: v_dual_mul_f32 v27, v27, v7
	v_mul_f32_e32 v7, v13, v7
	v_fma_f32 v7, v8, v5, -v7
	v_fma_f32 v8, -v32, v34, v38
	v_fma_f32 v32, -v30, v20, v12
	v_mul_f32_e32 v38, v29, v26
	v_add_f32_e32 v5, v13, v5
	v_mul_f32_e32 v7, v16, v7
	s_delay_alu instid0(VALU_DEP_4) | instskip(NEXT) | instid1(VALU_DEP_4)
	v_fmac_f32_e32 v20, v32, v37
	v_fma_f32 v32, -v33, v38, v29
	v_div_fmas_f32 v8, v8, v35, v34
	s_mov_b32 vcc_lo, s1
	v_div_scale_f32 v40, null, v3, v3, v7
	s_delay_alu instid0(VALU_DEP_3) | instskip(SKIP_2) | instid1(VALU_DEP_3)
	v_dual_fmac_f32 v38, v32, v26 :: v_dual_mul_f32 v27, v31, v27
	v_fma_f32 v12, -v30, v20, v12
	v_div_fixup_f32 v8, v8, v3, v25
	v_div_scale_f32 v17, null, v23, v23, v27
	v_div_scale_f32 v16, s3, v27, v23, v27
	s_delay_alu instid0(VALU_DEP_4) | instskip(NEXT) | instid1(VALU_DEP_3)
	v_div_fmas_f32 v12, v12, v37, v20
	v_rcp_f32_e32 v31, v17
	v_fma_f32 v20, -v33, v38, v29
	s_mov_b32 vcc_lo, s2
	s_delay_alu instid0(VALU_DEP_2) | instskip(NEXT) | instid1(VALU_DEP_2)
	v_div_fixup_f32 v12, v12, v28, v19
	v_div_fmas_f32 v20, v20, v26, v38
	s_mov_b32 vcc_lo, s3
	s_delay_alu instid0(VALU_DEP_2) | instskip(SKIP_2) | instid1(VALU_DEP_1)
	v_add_f32_e32 v5, v5, v12
	s_waitcnt_depctr 0xfff
	v_fma_f32 v36, -v17, v31, 1.0
	v_fmac_f32_e32 v31, v36, v31
	s_delay_alu instid0(VALU_DEP_1) | instskip(NEXT) | instid1(VALU_DEP_1)
	v_mul_f32_e32 v41, v16, v31
	v_fma_f32 v30, -v17, v41, v16
	s_delay_alu instid0(VALU_DEP_1) | instskip(SKIP_1) | instid1(VALU_DEP_2)
	v_fmac_f32_e32 v41, v30, v31
	v_div_scale_f32 v30, s0, v7, v3, v7
	v_fma_f32 v16, -v17, v41, v16
	s_delay_alu instid0(VALU_DEP_1) | instskip(NEXT) | instid1(VALU_DEP_1)
	v_div_fmas_f32 v16, v16, v31, v41
	v_div_fixup_f32 v16, v16, v23, v27
	s_delay_alu instid0(VALU_DEP_1) | instskip(SKIP_2) | instid1(VALU_DEP_1)
	v_add_f32_e32 v6, v6, v16
	v_div_scale_f32 v24, null, v28, v28, v15
	v_div_scale_f32 v42, s4, v15, v28, v15
	s_mov_b32 vcc_lo, s4
	s_delay_alu instid0(VALU_DEP_2) | instskip(SKIP_2) | instid1(VALU_DEP_2)
	v_rcp_f32_e32 v39, v24
	v_add_f32_e32 v16, v18, v8
	v_div_fixup_f32 v8, v20, v3, v22
	v_mov_b32_e32 v12, v16
	s_waitcnt_depctr 0xfff
	v_fma_f32 v36, -v24, v39, 1.0
	s_delay_alu instid0(VALU_DEP_1) | instskip(SKIP_1) | instid1(VALU_DEP_1)
	v_fmac_f32_e32 v39, v36, v39
	v_rcp_f32_e32 v36, v40
	v_mul_f32_e32 v32, v42, v39
	s_delay_alu instid0(VALU_DEP_1) | instskip(SKIP_3) | instid1(VALU_DEP_2)
	v_fma_f32 v29, -v24, v32, v42
	s_waitcnt_depctr 0xfff
	v_fma_f32 v34, -v40, v36, 1.0
	v_fmac_f32_e32 v32, v29, v39
	v_fmac_f32_e32 v36, v34, v36
	s_delay_alu instid0(VALU_DEP_2) | instskip(NEXT) | instid1(VALU_DEP_2)
	v_fma_f32 v14, -v24, v32, v42
	v_mul_f32_e32 v17, v30, v36
	s_delay_alu instid0(VALU_DEP_2) | instskip(NEXT) | instid1(VALU_DEP_2)
	v_div_fmas_f32 v14, v14, v39, v32
	v_fma_f32 v26, -v40, v17, v30
	s_mov_b32 vcc_lo, s0
	s_delay_alu instid0(VALU_DEP_2) | instskip(NEXT) | instid1(VALU_DEP_2)
	v_div_fixup_f32 v14, v14, v28, v15
	v_fmac_f32_e32 v17, v26, v36
	s_delay_alu instid0(VALU_DEP_2) | instskip(NEXT) | instid1(VALU_DEP_2)
	v_add_f32_e32 v6, v14, v6
	v_fma_f32 v13, -v40, v17, v30
	s_delay_alu instid0(VALU_DEP_1) | instskip(SKIP_3) | instid1(VALU_DEP_4)
	v_div_fmas_f32 v13, v13, v36, v17
	v_cmp_lt_f32_e32 vcc_lo, v10, v4
	v_dual_add_f32 v17, v8, v5 :: v_dual_mov_b32 v8, v3
	v_cndmask_b32_e32 v10, v10, v4, vcc_lo
	v_div_fixup_f32 v7, v13, v3, v7
	s_delay_alu instid0(VALU_DEP_1)
	v_dual_mov_b32 v13, v17 :: v_dual_add_f32 v14, v7, v6
.LBB34_50:
	s_or_b32 exec_lo, exec_lo, s19
	v_cmp_gt_u32_e32 vcc_lo, 4, v2
	v_add_nc_u32_e32 v2, 4, v2
	s_mov_b32 s4, exec_lo
	s_waitcnt lgkmcnt(4)
	v_cndmask_b32_e64 v4, 0, 1, vcc_lo
	s_delay_alu instid0(VALU_DEP_1) | instskip(NEXT) | instid1(VALU_DEP_1)
	v_lshlrev_b32_e32 v4, 2, v4
	v_add_lshl_u32 v4, v4, v1, 2
	s_waitcnt lgkmcnt(0)
	ds_bpermute_b32 v6, v4, v3
	ds_bpermute_b32 v7, v4, v9
	;; [unrolled: 1-line block ×7, first 2 shown]
	v_cmpx_gt_u32_e64 s5, v2
	s_cbranch_execz .LBB34_52
; %bb.51:
	s_waitcnt lgkmcnt(3)
	v_dual_sub_f32 v2, v15, v11 :: v_dual_add_f32 v15, v8, v6
	v_cmp_gt_f32_e32 vcc_lo, v9, v7
	v_mul_f32_e32 v18, v12, v6
	v_dual_mul_f32 v19, v8, v8 :: v_dual_mul_f32 v22, v6, v6
	s_delay_alu instid0(VALU_DEP_4) | instskip(SKIP_2) | instid1(VALU_DEP_3)
	v_mul_f32_e32 v17, v2, v2
	v_dual_cndmask_b32 v9, v9, v7 :: v_dual_mul_f32 v16, v2, v6
	v_sub_f32_e32 v7, v8, v6
	v_dual_mul_f32 v23, v15, v15 :: v_dual_mul_f32 v24, v2, v17
	s_waitcnt lgkmcnt(2)
	v_fma_f32 v18, v8, v3, -v18
	v_fma_f32 v29, -v8, v6, v19
	v_mul_f32_e32 v19, v19, v3
	v_div_scale_f32 v20, null, v15, v15, v16
	v_mul_f32_e32 v27, v8, v24
	v_mul_f32_e32 v24, v2, v24
	v_fmac_f32_e32 v29, v6, v6
	v_mul_f32_e32 v26, 0x40400000, v2
	v_rcp_f32_e32 v25, v20
	v_div_scale_f32 v32, vcc_lo, v16, v15, v16
	v_mul_f32_e32 v24, v8, v24
	s_delay_alu instid0(VALU_DEP_3) | instskip(SKIP_2) | instid1(VALU_DEP_4)
	v_dual_mul_f32 v21, v8, v17 :: v_dual_mul_f32 v18, v26, v18
	v_fmac_f32_e32 v19, v12, v22
	v_mul_f32_e32 v2, 4.0, v2
	v_mul_f32_e32 v24, v24, v6
	s_delay_alu instid0(VALU_DEP_4) | instskip(NEXT) | instid1(TRANS32_DEP_1)
	v_mul_f32_e32 v21, v21, v6
	v_fma_f32 v30, -v20, v25, 1.0
	v_mul_f32_e32 v27, v27, v6
	v_mul_f32_e32 v6, v13, v6
	;; [unrolled: 1-line block ×3, first 2 shown]
	v_div_scale_f32 v28, null, v15, v15, v21
	v_fmac_f32_e32 v25, v30, v25
	v_mul_f32_e32 v7, v7, v27
	v_div_scale_f32 v35, s0, v21, v15, v21
	s_delay_alu instid0(VALU_DEP_4) | instskip(SKIP_4) | instid1(VALU_DEP_3)
	v_rcp_f32_e32 v31, v28
	s_waitcnt lgkmcnt(1)
	v_fma_f32 v6, v8, v5, -v6
	v_div_scale_f32 v30, null, v23, v23, v7
	v_mul_f32_e32 v17, 0x40c00000, v17
	v_dual_add_f32 v5, v13, v5 :: v_dual_mul_f32 v2, v2, v6
	s_delay_alu instid0(VALU_DEP_3) | instskip(SKIP_1) | instid1(TRANS32_DEP_2)
	v_rcp_f32_e32 v36, v30
	v_add_f32_e32 v3, v12, v3
	v_fma_f32 v34, -v28, v31, 1.0
	s_delay_alu instid0(VALU_DEP_1) | instskip(SKIP_1) | instid1(VALU_DEP_2)
	v_fmac_f32_e32 v31, v34, v31
	v_div_scale_f32 v34, null, v15, v15, v18
	v_dual_mul_f32 v26, v35, v31 :: v_dual_mul_f32 v33, v32, v25
	s_delay_alu instid0(VALU_DEP_1) | instskip(NEXT) | instid1(VALU_DEP_1)
	v_fma_f32 v37, -v20, v33, v32
	v_fmac_f32_e32 v33, v37, v25
	s_delay_alu instid0(VALU_DEP_3) | instskip(NEXT) | instid1(VALU_DEP_2)
	v_fma_f32 v37, -v28, v26, v35
	v_fma_f32 v20, -v20, v33, v32
	v_fma_f32 v32, -v30, v36, 1.0
	s_delay_alu instid0(VALU_DEP_3) | instskip(NEXT) | instid1(VALU_DEP_3)
	v_fmac_f32_e32 v26, v37, v31
	v_div_fmas_f32 v20, v20, v25, v33
	s_delay_alu instid0(VALU_DEP_3) | instskip(SKIP_4) | instid1(VALU_DEP_3)
	v_fmac_f32_e32 v36, v32, v36
	v_div_scale_f32 v22, s1, v7, v23, v7
	v_mul_f32_e32 v17, v17, v19
	v_fma_f32 v19, -v28, v26, v35
	s_mov_b32 vcc_lo, s0
	v_dual_mul_f32 v27, v15, v23 :: v_dual_mul_f32 v28, v22, v36
	v_rcp_f32_e32 v25, v34
	s_delay_alu instid0(VALU_DEP_2) | instskip(SKIP_4) | instid1(VALU_DEP_4)
	v_div_fmas_f32 v19, v19, v31, v26
	v_div_scale_f32 v31, null, v15, v15, v2
	v_div_fixup_f32 v16, v20, v15, v16
	v_div_scale_f32 v20, null, v27, v27, v24
	v_fma_f32 v6, -v30, v28, v22
	v_rcp_f32_e32 v38, v31
	v_div_scale_f32 v33, s2, v18, v15, v18
	s_delay_alu instid0(TRANS32_DEP_2)
	v_fma_f32 v29, -v34, v25, 1.0
	v_rcp_f32_e32 v32, v20
	v_fmac_f32_e32 v28, v6, v36
	s_mov_b32 vcc_lo, s1
	v_div_fixup_f32 v12, v19, v15, v21
	v_add_f32_e32 v11, v11, v16
	s_delay_alu instid0(VALU_DEP_3) | instskip(NEXT) | instid1(TRANS32_DEP_2)
	v_fma_f32 v13, -v30, v28, v22
	v_fma_f32 v30, -v31, v38, 1.0
	v_fmac_f32_e32 v25, v29, v25
	v_div_scale_f32 v29, null, v23, v23, v17
	s_delay_alu instid0(TRANS32_DEP_1) | instskip(NEXT) | instid1(VALU_DEP_4)
	v_fma_f32 v35, -v20, v32, 1.0
	v_fmac_f32_e32 v38, v30, v38
	s_delay_alu instid0(VALU_DEP_4) | instskip(NEXT) | instid1(VALU_DEP_4)
	v_mul_f32_e32 v26, v33, v25
	v_rcp_f32_e32 v8, v29
	v_div_fmas_f32 v13, v13, v36, v28
	v_fmac_f32_e32 v32, v35, v32
	v_div_scale_f32 v35, s0, v24, v27, v24
	v_fma_f32 v6, -v34, v26, v33
	s_mov_b32 vcc_lo, s2
	v_div_scale_f32 v30, s1, v2, v15, v2
	s_delay_alu instid0(VALU_DEP_2) | instskip(NEXT) | instid1(TRANS32_DEP_1)
	v_dual_mul_f32 v39, v35, v32 :: v_dual_fmac_f32 v26, v6, v25
	v_fma_f32 v37, -v29, v8, 1.0
	v_div_fixup_f32 v7, v13, v23, v7
	v_add_f32_e32 v12, v3, v12
	s_delay_alu instid0(VALU_DEP_4) | instskip(SKIP_3) | instid1(VALU_DEP_3)
	v_fma_f32 v6, -v20, v39, v35
	v_fma_f32 v28, -v34, v26, v33
	v_fmac_f32_e32 v8, v37, v8
	v_div_scale_f32 v37, s3, v17, v23, v17
	v_div_fmas_f32 v25, v28, v25, v26
	v_mul_f32_e32 v26, v30, v38
	v_fmac_f32_e32 v39, v6, v32
	s_waitcnt lgkmcnt(0)
	v_dual_add_f32 v4, v14, v4 :: v_dual_add_f32 v5, v5, v7
	v_div_fixup_f32 v7, v25, v15, v18
	v_mul_f32_e32 v22, v37, v8
	v_fma_f32 v20, -v20, v39, v35
	s_mov_b32 vcc_lo, s0
	s_delay_alu instid0(VALU_DEP_2) | instskip(NEXT) | instid1(VALU_DEP_1)
	v_fma_f32 v6, -v29, v22, v37
	v_fmac_f32_e32 v22, v6, v8
	s_delay_alu instid0(VALU_DEP_3) | instskip(SKIP_2) | instid1(VALU_DEP_3)
	v_div_fmas_f32 v6, v20, v32, v39
	v_fma_f32 v20, -v31, v26, v30
	s_mov_b32 vcc_lo, s3
	v_fma_f32 v13, -v29, v22, v37
	s_delay_alu instid0(VALU_DEP_3) | instskip(NEXT) | instid1(VALU_DEP_3)
	v_div_fixup_f32 v6, v6, v27, v24
	v_fmac_f32_e32 v26, v20, v38
	s_delay_alu instid0(VALU_DEP_3) | instskip(SKIP_1) | instid1(VALU_DEP_2)
	v_div_fmas_f32 v8, v13, v8, v22
	s_mov_b32 vcc_lo, s1
	v_fma_f32 v13, -v31, v26, v30
	v_add_f32_e32 v4, v4, v6
	s_delay_alu instid0(VALU_DEP_3) | instskip(NEXT) | instid1(VALU_DEP_3)
	v_div_fixup_f32 v6, v8, v23, v17
	v_div_fmas_f32 v8, v13, v38, v26
	v_cmp_lt_f32_e32 vcc_lo, v10, v1
	s_delay_alu instid0(VALU_DEP_3) | instskip(NEXT) | instid1(VALU_DEP_3)
	v_dual_add_f32 v13, v7, v5 :: v_dual_add_f32 v4, v6, v4
	v_div_fixup_f32 v2, v8, v15, v2
	v_cndmask_b32_e32 v10, v10, v1, vcc_lo
	v_mov_b32_e32 v8, v15
	s_delay_alu instid0(VALU_DEP_3)
	v_add_f32_e32 v14, v2, v4
.LBB34_52:
	s_or_b32 exec_lo, exec_lo, s4
.LBB34_53:
	s_delay_alu instid0(SALU_CYCLE_1)
	s_or_b32 exec_lo, exec_lo, s6
.LBB34_54:
	s_mov_b32 s19, 0
                                        ; implicit-def: $vgpr7
                                        ; implicit-def: $vgpr4
	s_mov_b32 s0, exec_lo
	v_cmpx_eq_u32_e32 0, v0
	s_xor_b32 s5, exec_lo, s0
	s_cbranch_execz .LBB34_58
; %bb.55:
	s_waitcnt lgkmcnt(5)
	v_dual_mov_b32 v7, s18 :: v_dual_mov_b32 v6, s17
	s_waitcnt lgkmcnt(0)
	v_dual_mov_b32 v5, s16 :: v_dual_mov_b32 v4, s15
	v_dual_mov_b32 v3, s14 :: v_dual_mov_b32 v2, s13
	v_mov_b32_e32 v1, s12
	s_cmp_eq_u64 s[8:9], 0
	s_cbranch_scc1 .LBB34_57
; %bb.56:
	v_dual_subrev_f32 v3, s15, v11 :: v_dual_mul_f32 v6, s16, v8
	v_cmp_gt_f32_e32 vcc_lo, s13, v9
	v_sub_f32_e32 v5, s12, v8
	v_mul_f32_e64 v11, s12, s12
	s_delay_alu instid0(VALU_DEP_4) | instskip(SKIP_4) | instid1(VALU_DEP_4)
	v_mul_f32_e32 v20, 0x40400000, v3
	v_dual_mul_f32 v7, v3, v3 :: v_dual_cndmask_b32 v2, s13, v9
	v_add_f32_e32 v1, s12, v8
	v_fma_f32 v6, s12, v12, -v6
	v_fma_f32 v22, -s12, v8, v11
	v_mul_f32_e32 v16, s12, v7
	s_delay_alu instid0(VALU_DEP_4) | instskip(SKIP_1) | instid1(VALU_DEP_3)
	v_dual_mul_f32 v4, v3, v8 :: v_dual_mul_f32 v19, v1, v1
	v_mul_f32_e32 v17, v3, v7
	v_dual_mul_f32 v7, 0x40c00000, v7 :: v_dual_mul_f32 v16, v16, v8
	s_delay_alu instid0(VALU_DEP_3) | instskip(SKIP_1) | instid1(VALU_DEP_3)
	v_div_scale_f32 v9, null, v1, v1, v4
	v_div_scale_f32 v25, vcc_lo, v4, v1, v4
	v_div_scale_f32 v23, null, v1, v1, v16
	s_delay_alu instid0(VALU_DEP_3) | instskip(SKIP_1) | instid1(VALU_DEP_2)
	v_rcp_f32_e32 v18, v9
	v_div_scale_f32 v30, s0, v16, v1, v16
	v_rcp_f32_e32 v26, v23
	v_mul_f32_e32 v6, v20, v6
	v_fmac_f32_e32 v22, v8, v8
	v_add_f32_e32 v14, s18, v14
	s_waitcnt_depctr 0xfff
	v_fma_f32 v24, -v9, v18, 1.0
	v_mul_f32_e32 v21, s12, v17
	v_fma_f32 v27, -v23, v26, 1.0
	s_delay_alu instid0(VALU_DEP_3) | instskip(NEXT) | instid1(VALU_DEP_3)
	v_fmac_f32_e32 v18, v24, v18
	v_mul_f32_e32 v21, v8, v21
	s_delay_alu instid0(VALU_DEP_3) | instskip(SKIP_1) | instid1(VALU_DEP_4)
	v_dual_mul_f32 v15, v8, v8 :: v_dual_fmac_f32 v26, v27, v26
	v_div_scale_f32 v27, null, v1, v1, v6
	v_mul_f32_e32 v24, v25, v18
	s_delay_alu instid0(VALU_DEP_4) | instskip(NEXT) | instid1(VALU_DEP_4)
	v_mul_f32_e32 v5, v5, v21
	v_mul_f32_e32 v15, s16, v15
	;; [unrolled: 1-line block ×3, first 2 shown]
	s_delay_alu instid0(VALU_DEP_4) | instskip(NEXT) | instid1(VALU_DEP_4)
	v_fma_f32 v29, -v9, v24, v25
	v_div_scale_f32 v20, null, v19, v19, v5
	v_mul_f32_e32 v17, v3, v17
	s_delay_alu instid0(VALU_DEP_3) | instskip(NEXT) | instid1(VALU_DEP_3)
	v_dual_fmac_f32 v15, v11, v12 :: v_dual_fmac_f32 v24, v29, v18
	v_rcp_f32_e32 v28, v20
	s_delay_alu instid0(VALU_DEP_1) | instskip(NEXT) | instid1(VALU_DEP_2)
	v_dual_add_f32 v12, s16, v12 :: v_dual_mul_f32 v7, v7, v15
	v_fma_f32 v9, -v9, v24, v25
	v_rcp_f32_e32 v25, v27
	s_delay_alu instid0(VALU_DEP_2)
	v_div_scale_f32 v36, s4, v7, v19, v7
	s_waitcnt_depctr 0xfff
	v_fma_f32 v31, -v20, v28, 1.0
	v_div_fmas_f32 v9, v9, v18, v24
	v_mul_f32_e32 v17, s12, v17
	s_mov_b32 vcc_lo, s0
	s_delay_alu instid0(VALU_DEP_3) | instskip(NEXT) | instid1(VALU_DEP_3)
	v_fmac_f32_e32 v28, v31, v28
	v_div_fixup_f32 v4, v9, v1, v4
	v_div_scale_f32 v9, s1, v5, v19, v5
	v_fma_f32 v11, -v27, v25, 1.0
	v_dual_mul_f32 v17, v8, v17 :: v_dual_mul_f32 v8, s17, v8
	s_delay_alu instid0(VALU_DEP_3) | instskip(SKIP_1) | instid1(VALU_DEP_4)
	v_mul_f32_e32 v15, v9, v28
	v_dual_mul_f32 v3, 4.0, v3 :: v_dual_add_f32 v4, s15, v4
	v_fmac_f32_e32 v25, v11, v25
	v_div_scale_f32 v11, null, v19, v19, v7
	v_fma_f32 v8, s12, v13, -v8
	v_add_f32_e32 v13, s17, v13
	s_delay_alu instid0(VALU_DEP_3) | instskip(SKIP_1) | instid1(VALU_DEP_1)
	v_rcp_f32_e32 v32, v11
	v_mul_f32_e32 v17, v22, v17
	v_div_scale_f32 v18, null, v21, v21, v17
	s_delay_alu instid0(VALU_DEP_1) | instskip(SKIP_2) | instid1(VALU_DEP_1)
	v_rcp_f32_e32 v24, v18
	s_waitcnt_depctr 0xfff
	v_fma_f32 v31, -v18, v24, 1.0
	v_dual_mul_f32 v29, v30, v26 :: v_dual_fmac_f32 v24, v31, v24
	s_delay_alu instid0(VALU_DEP_1) | instskip(SKIP_1) | instid1(VALU_DEP_2)
	v_fma_f32 v22, -v23, v29, v30
	v_fma_f32 v31, -v11, v32, 1.0
	v_fmac_f32_e32 v29, v22, v26
	v_div_scale_f32 v22, s2, v6, v1, v6
	s_delay_alu instid0(VALU_DEP_3) | instskip(NEXT) | instid1(VALU_DEP_3)
	v_fmac_f32_e32 v32, v31, v32
	v_fma_f32 v23, -v23, v29, v30
	v_fma_f32 v30, -v20, v15, v9
	s_delay_alu instid0(VALU_DEP_4) | instskip(NEXT) | instid1(VALU_DEP_3)
	v_mul_f32_e32 v33, v22, v25
	v_div_fmas_f32 v23, v23, v26, v29
	s_delay_alu instid0(VALU_DEP_3) | instskip(NEXT) | instid1(VALU_DEP_3)
	v_fmac_f32_e32 v15, v30, v28
	v_fma_f32 v30, -v27, v33, v22
	s_mov_b32 vcc_lo, s1
	v_mul_f32_e32 v26, v36, v32
	s_delay_alu instid0(VALU_DEP_3) | instskip(NEXT) | instid1(VALU_DEP_3)
	v_fma_f32 v9, -v20, v15, v9
	v_fmac_f32_e32 v33, v30, v25
	s_delay_alu instid0(VALU_DEP_2) | instskip(NEXT) | instid1(VALU_DEP_2)
	v_div_fmas_f32 v9, v9, v28, v15
	v_fma_f32 v15, -v27, v33, v22
	s_mov_b32 vcc_lo, s2
	s_delay_alu instid0(VALU_DEP_2) | instskip(NEXT) | instid1(VALU_DEP_2)
	v_div_fixup_f32 v5, v9, v19, v5
	v_div_fmas_f32 v15, v15, v25, v33
	s_delay_alu instid0(VALU_DEP_2) | instskip(NEXT) | instid1(VALU_DEP_2)
	v_add_f32_e32 v13, v13, v5
	v_div_fixup_f32 v6, v15, v1, v6
	v_mul_f32_e32 v3, v3, v8
	v_div_scale_f32 v8, s3, v17, v21, v17
	s_delay_alu instid0(VALU_DEP_1) | instskip(NEXT) | instid1(VALU_DEP_3)
	s_mov_b32 vcc_lo, s3
	v_add_f32_e32 v6, v6, v13
	s_delay_alu instid0(VALU_DEP_3) | instskip(NEXT) | instid1(VALU_DEP_3)
	v_div_scale_f32 v34, null, v1, v1, v3
	v_mul_f32_e32 v35, v8, v24
	v_div_scale_f32 v22, s0, v3, v1, v3
	s_delay_alu instid0(VALU_DEP_3) | instskip(NEXT) | instid1(VALU_DEP_2)
	v_rcp_f32_e32 v31, v34
	v_fma_f32 v20, -v18, v35, v8
	s_delay_alu instid0(VALU_DEP_1) | instskip(SKIP_4) | instid1(VALU_DEP_2)
	v_fmac_f32_e32 v35, v20, v24
	v_fma_f32 v20, -v11, v26, v36
	s_waitcnt_depctr 0xfff
	v_fma_f32 v29, -v34, v31, 1.0
	v_fma_f32 v8, -v18, v35, v8
	v_dual_fmac_f32 v26, v20, v32 :: v_dual_fmac_f32 v31, v29, v31
	s_delay_alu instid0(VALU_DEP_2) | instskip(NEXT) | instid1(VALU_DEP_2)
	v_div_fmas_f32 v8, v8, v24, v35
	v_fma_f32 v11, -v11, v26, v36
	s_mov_b32 vcc_lo, s4
	s_delay_alu instid0(VALU_DEP_3) | instskip(NEXT) | instid1(VALU_DEP_3)
	v_mul_f32_e32 v18, v22, v31
	v_div_fixup_f32 v8, v8, v21, v17
	s_delay_alu instid0(VALU_DEP_3) | instskip(SKIP_1) | instid1(VALU_DEP_3)
	v_div_fmas_f32 v11, v11, v32, v26
	s_mov_b32 vcc_lo, s0
	v_fma_f32 v20, -v34, v18, v22
	s_delay_alu instid0(VALU_DEP_3) | instskip(NEXT) | instid1(VALU_DEP_3)
	v_add_f32_e32 v8, v14, v8
	v_div_fixup_f32 v7, v11, v19, v7
	v_div_fixup_f32 v11, v23, v1, v16
	s_delay_alu instid0(VALU_DEP_2) | instskip(NEXT) | instid1(VALU_DEP_2)
	v_dual_fmac_f32 v18, v20, v31 :: v_dual_add_f32 v7, v7, v8
	v_add_f32_e32 v5, v12, v11
	s_delay_alu instid0(VALU_DEP_2) | instskip(NEXT) | instid1(VALU_DEP_1)
	v_fma_f32 v9, -v34, v18, v22
	v_div_fmas_f32 v9, v9, v31, v18
	v_cmp_lt_f32_e32 vcc_lo, s14, v10
	s_delay_alu instid0(VALU_DEP_2) | instskip(SKIP_1) | instid1(VALU_DEP_2)
	v_div_fixup_f32 v8, v9, v1, v3
	v_cndmask_b32_e32 v3, s14, v10, vcc_lo
	v_add_f32_e32 v7, v8, v7
.LBB34_57:
	s_mov_b32 s19, exec_lo
.LBB34_58:
	s_or_b32 exec_lo, exec_lo, s5
	s_delay_alu instid0(SALU_CYCLE_1)
	s_and_b32 vcc_lo, exec_lo, s7
	s_cbranch_vccnz .LBB34_12
.LBB34_59:
	s_branch .LBB34_101
.LBB34_60:
                                        ; implicit-def: $vgpr8
                                        ; implicit-def: $vgpr10
                                        ; implicit-def: $vgpr12
                                        ; implicit-def: $vgpr14
	s_cbranch_execz .LBB34_88
; %bb.61:
	s_sub_i32 s0, s8, s24
	s_mov_b32 s1, exec_lo
                                        ; implicit-def: $vgpr11
	v_cmpx_gt_u32_e64 s0, v0
	s_cbranch_execz .LBB34_63
; %bb.62:
	s_waitcnt lgkmcnt(4)
	v_lshlrev_b32_e32 v1, 2, v0
	global_load_b32 v11, v1, s[6:7]
.LBB34_63:
	s_or_b32 exec_lo, exec_lo, s1
	s_waitcnt lgkmcnt(4)
	v_or_b32_e32 v1, 0x100, v0
	s_delay_alu instid0(VALU_DEP_1)
	v_cmp_gt_u32_e32 vcc_lo, s0, v1
                                        ; implicit-def: $vgpr1
	s_and_saveexec_b32 s1, vcc_lo
	s_cbranch_execz .LBB34_65
; %bb.64:
	v_lshlrev_b32_e32 v1, 2, v0
	global_load_b32 v1, v1, s[6:7] offset:1024
.LBB34_65:
	s_or_b32 exec_lo, exec_lo, s1
	v_dual_mov_b32 v14, 0 :: v_dual_mov_b32 v13, 0
	s_waitcnt vmcnt(0)
	v_dual_mov_b32 v8, 1.0 :: v_dual_mov_b32 v9, v11
	v_mov_b32_e32 v12, 0
	v_mov_b32_e32 v10, v11
	s_and_saveexec_b32 s1, vcc_lo
	s_cbranch_execz .LBB34_67
; %bb.66:
	s_waitcnt lgkmcnt(1)
	v_dual_sub_f32 v2, v1, v11 :: v_dual_mov_b32 v5, 0
	v_cmp_lt_f32_e32 vcc_lo, v1, v11
	s_delay_alu instid0(VALU_DEP_2) | instskip(SKIP_3) | instid1(VALU_DEP_3)
	v_mul_f32_e32 v3, v2, v2
	v_dual_mul_f32 v8, 0x40400000, v2 :: v_dual_cndmask_b32 v9, v11, v1
	v_cmp_lt_f32_e32 vcc_lo, v11, v1
	s_waitcnt lgkmcnt(0)
	v_mul_f32_e32 v4, v2, v3
	s_delay_alu instid0(VALU_DEP_1) | instskip(SKIP_3) | instid1(VALU_DEP_4)
	v_mul_f32_e32 v7, v2, v4
	v_mul_f32_e32 v4, 0, v4
	;; [unrolled: 1-line block ×3, first 2 shown]
	v_mul_f32_e32 v12, 0.5, v3
	v_dual_fmamk_f32 v14, v7, 0x3e000000, v5 :: v_dual_mul_f32 v5, 0, v8
	s_delay_alu instid0(VALU_DEP_3) | instskip(SKIP_2) | instid1(VALU_DEP_2)
	v_mul_f32_e32 v6, 0, v6
	v_fma_f32 v13, 0x3e800000, v4, 0
	v_mul_f32_e32 v10, 4.0, v2
	v_dual_mov_b32 v8, 2.0 :: v_dual_fmac_f32 v13, 0.5, v5
	s_delay_alu instid0(VALU_DEP_2) | instskip(SKIP_2) | instid1(VALU_DEP_2)
	v_mul_f32_e32 v7, 0, v10
	v_fmac_f32_e32 v14, 0x3e800000, v6
	v_dual_cndmask_b32 v10, v11, v1 :: v_dual_fmac_f32 v11, 0.5, v2
	v_fmac_f32_e32 v14, 0.5, v7
.LBB34_67:
	s_or_b32 exec_lo, exec_lo, s1
	v_mbcnt_lo_u32_b32 v1, -1, 0
	s_min_u32 s4, s0, 0x100
	s_mov_b32 s5, exec_lo
	s_delay_alu instid0(VALU_DEP_1) | instskip(SKIP_2) | instid1(VALU_DEP_1)
	v_cmp_ne_u32_e32 vcc_lo, 31, v1
	v_add_nc_u32_e32 v17, 1, v1
	v_add_co_ci_u32_e32 v2, vcc_lo, 0, v1, vcc_lo
	v_lshlrev_b32_e32 v2, 2, v2
	ds_bpermute_b32 v6, v2, v8
	s_waitcnt lgkmcnt(4)
	ds_bpermute_b32 v15, v2, v9
	s_waitcnt lgkmcnt(4)
	ds_bpermute_b32 v3, v2, v10
	ds_bpermute_b32 v16, v2, v11
	;; [unrolled: 1-line block ×3, first 2 shown]
	s_waitcnt lgkmcnt(6)
	ds_bpermute_b32 v5, v2, v13
	s_waitcnt lgkmcnt(6)
	ds_bpermute_b32 v4, v2, v14
	v_and_b32_e32 v2, 0xe0, v0
	s_delay_alu instid0(VALU_DEP_1) | instskip(NEXT) | instid1(VALU_DEP_1)
	v_sub_nc_u32_e64 v2, s4, v2 clamp
	v_cmpx_lt_u32_e64 v17, v2
	s_cbranch_execz .LBB34_69
; %bb.68:
	s_waitcnt lgkmcnt(6)
	v_add_f32_e32 v17, v8, v6
	s_waitcnt lgkmcnt(3)
	v_sub_f32_e32 v16, v16, v11
	v_cmp_gt_f32_e32 vcc_lo, v9, v15
	s_waitcnt lgkmcnt(0)
	v_dual_add_f32 v4, v14, v4 :: v_dual_mul_f32 v25, v17, v17
	s_delay_alu instid0(VALU_DEP_3) | instskip(SKIP_2) | instid1(VALU_DEP_3)
	v_mul_f32_e32 v19, v16, v16
	v_dual_cndmask_b32 v9, v9, v15 :: v_dual_mul_f32 v18, v16, v6
	v_dual_mul_f32 v28, 0x40400000, v16 :: v_dual_mul_f32 v21, v12, v6
	v_mul_f32_e32 v23, v8, v19
	v_mul_f32_e32 v24, v8, v8
	s_delay_alu instid0(VALU_DEP_4) | instskip(SKIP_1) | instid1(VALU_DEP_4)
	v_div_scale_f32 v22, null, v17, v17, v18
	v_div_scale_f32 v35, vcc_lo, v18, v17, v18
	v_mul_f32_e32 v23, v23, v6
	s_delay_alu instid0(VALU_DEP_3) | instskip(SKIP_2) | instid1(VALU_DEP_3)
	v_rcp_f32_e32 v27, v22
	v_dual_add_f32 v15, v12, v7 :: v_dual_mul_f32 v32, v17, v25
	v_fma_f32 v31, -v8, v6, v24
	v_div_scale_f32 v30, null, v17, v17, v23
	v_div_scale_f32 v36, s0, v23, v17, v23
	s_delay_alu instid0(VALU_DEP_2) | instskip(SKIP_2) | instid1(VALU_DEP_1)
	v_rcp_f32_e32 v34, v30
	s_waitcnt_depctr 0xfff
	v_fma_f32 v33, -v22, v27, 1.0
	v_dual_sub_f32 v20, v8, v6 :: v_dual_fmac_f32 v27, v33, v27
	v_fma_f32 v33, -v30, v34, 1.0
	s_delay_alu instid0(VALU_DEP_1) | instskip(SKIP_2) | instid1(VALU_DEP_2)
	v_fmac_f32_e32 v34, v33, v34
	v_mul_f32_e32 v26, v16, v19
	v_mul_f32_e32 v19, 0x40c00000, v19
	;; [unrolled: 1-line block ×3, first 2 shown]
	s_delay_alu instid0(VALU_DEP_1) | instskip(NEXT) | instid1(VALU_DEP_1)
	v_mul_f32_e32 v29, v29, v6
	v_dual_mul_f32 v20, v20, v29 :: v_dual_mul_f32 v29, v35, v27
	s_delay_alu instid0(VALU_DEP_1) | instskip(SKIP_4) | instid1(VALU_DEP_4)
	v_fma_f32 v38, -v22, v29, v35
	v_mul_f32_e32 v26, v16, v26
	v_mul_f32_e32 v16, 4.0, v16
	v_fma_f32 v21, v8, v7, -v21
	v_mul_f32_e32 v7, v24, v7
	v_dual_fmac_f32 v29, v38, v27 :: v_dual_mul_f32 v26, v8, v26
	s_delay_alu instid0(VALU_DEP_1) | instskip(NEXT) | instid1(VALU_DEP_2)
	v_fma_f32 v22, -v22, v29, v35
	v_mul_f32_e32 v26, v26, v6
	s_delay_alu instid0(VALU_DEP_2) | instskip(SKIP_2) | instid1(VALU_DEP_1)
	v_div_fmas_f32 v22, v22, v27, v29
	v_mul_f32_e32 v27, v6, v6
	s_mov_b32 vcc_lo, s0
	v_fmac_f32_e32 v7, v12, v27
	v_mul_f32_e32 v38, v36, v34
	v_div_scale_f32 v12, s1, v20, v25, v20
	s_delay_alu instid0(VALU_DEP_3) | instskip(NEXT) | instid1(VALU_DEP_3)
	v_mul_f32_e32 v7, v19, v7
	v_fma_f32 v35, -v30, v38, v36
	v_mul_f32_e32 v21, v28, v21
	v_div_scale_f32 v28, null, v25, v25, v20
	s_delay_alu instid0(VALU_DEP_3) | instskip(NEXT) | instid1(VALU_DEP_3)
	v_fmac_f32_e32 v38, v35, v34
	v_div_scale_f32 v33, null, v17, v17, v21
	s_delay_alu instid0(VALU_DEP_3) | instskip(NEXT) | instid1(VALU_DEP_2)
	v_rcp_f32_e32 v37, v28
	v_fma_f32 v19, -v30, v38, v36
	s_delay_alu instid0(VALU_DEP_2) | instskip(NEXT) | instid1(VALU_DEP_1)
	v_rcp_f32_e32 v39, v33
	v_div_fmas_f32 v19, v19, v34, v38
	s_mov_b32 vcc_lo, s1
	s_waitcnt_depctr 0xfff
	v_fma_f32 v40, -v28, v37, 1.0
	v_fma_f32 v27, -v33, v39, 1.0
	s_delay_alu instid0(VALU_DEP_2) | instskip(SKIP_2) | instid1(VALU_DEP_1)
	v_fmac_f32_e32 v37, v40, v37
	v_fmac_f32_e32 v31, v6, v6
	v_mul_f32_e32 v6, v13, v6
	v_fma_f32 v6, v8, v5, -v6
	v_fmac_f32_e32 v39, v27, v39
	v_div_scale_f32 v27, null, v25, v25, v7
	s_delay_alu instid0(VALU_DEP_3) | instskip(NEXT) | instid1(VALU_DEP_2)
	v_mul_f32_e32 v6, v16, v6
	v_rcp_f32_e32 v8, v27
	s_waitcnt_depctr 0xfff
	v_fma_f32 v38, -v27, v8, 1.0
	s_delay_alu instid0(VALU_DEP_1) | instskip(SKIP_4) | instid1(VALU_DEP_3)
	v_fmac_f32_e32 v8, v38, v8
	v_mul_f32_e32 v30, v12, v37
	v_mul_f32_e32 v26, v31, v26
	v_div_scale_f32 v31, s2, v21, v17, v21
	v_div_scale_f32 v38, s3, v7, v25, v7
	v_div_scale_f32 v24, null, v32, v32, v26
	v_fma_f32 v16, -v28, v30, v12
	s_delay_alu instid0(VALU_DEP_4) | instskip(SKIP_1) | instid1(VALU_DEP_4)
	v_mul_f32_e32 v34, v31, v39
	v_div_scale_f32 v36, s0, v26, v32, v26
	v_rcp_f32_e32 v29, v24
	s_delay_alu instid0(VALU_DEP_3) | instskip(NEXT) | instid1(VALU_DEP_3)
	v_fmac_f32_e32 v30, v16, v37
	v_fma_f32 v16, -v33, v34, v31
	s_delay_alu instid0(VALU_DEP_2) | instskip(NEXT) | instid1(VALU_DEP_2)
	v_fma_f32 v12, -v28, v30, v12
	v_fmac_f32_e32 v34, v16, v39
	v_mul_f32_e32 v16, v38, v8
	s_waitcnt_depctr 0xfff
	v_fma_f32 v35, -v24, v29, 1.0
	v_div_fmas_f32 v12, v12, v37, v30
	v_fma_f32 v30, -v33, v34, v31
	s_mov_b32 vcc_lo, s2
	s_delay_alu instid0(VALU_DEP_3) | instskip(SKIP_1) | instid1(VALU_DEP_3)
	v_fmac_f32_e32 v29, v35, v29
	v_div_scale_f32 v35, null, v17, v17, v6
	v_div_fmas_f32 v30, v30, v39, v34
	s_mov_b32 vcc_lo, s0
	s_delay_alu instid0(VALU_DEP_3) | instskip(NEXT) | instid1(VALU_DEP_3)
	v_mul_f32_e32 v41, v36, v29
	v_rcp_f32_e32 v40, v35
	v_div_fixup_f32 v12, v12, v25, v20
	s_waitcnt_depctr 0xfff
	v_fma_f32 v28, -v35, v40, 1.0
	v_add_f32_e32 v5, v13, v5
	v_fma_f32 v13, -v24, v41, v36
	s_delay_alu instid0(VALU_DEP_3) | instskip(SKIP_1) | instid1(VALU_DEP_3)
	v_fmac_f32_e32 v40, v28, v40
	v_div_scale_f32 v28, s1, v6, v17, v6
	v_fmac_f32_e32 v41, v13, v29
	v_fma_f32 v13, -v27, v16, v38
	s_delay_alu instid0(VALU_DEP_3) | instskip(NEXT) | instid1(VALU_DEP_3)
	v_mul_f32_e32 v31, v28, v40
	v_fma_f32 v24, -v24, v41, v36
	s_delay_alu instid0(VALU_DEP_3) | instskip(NEXT) | instid1(VALU_DEP_2)
	v_fmac_f32_e32 v16, v13, v8
	v_div_fmas_f32 v13, v24, v29, v41
	s_delay_alu instid0(VALU_DEP_2) | instskip(SKIP_2) | instid1(VALU_DEP_3)
	v_fma_f32 v14, -v27, v16, v38
	s_mov_b32 vcc_lo, s3
	v_fma_f32 v24, -v35, v31, v28
	v_div_fixup_f32 v13, v13, v32, v26
	s_delay_alu instid0(VALU_DEP_3)
	v_div_fmas_f32 v8, v14, v8, v16
	v_div_fixup_f32 v14, v19, v17, v23
	v_add_f32_e32 v5, v5, v12
	s_mov_b32 vcc_lo, s1
	v_add_f32_e32 v4, v4, v13
	v_div_fixup_f32 v7, v8, v25, v7
	v_add_f32_e32 v15, v15, v14
	v_fmac_f32_e32 v31, v24, v40
	v_div_fixup_f32 v13, v22, v17, v18
	s_delay_alu instid0(VALU_DEP_2) | instskip(NEXT) | instid1(VALU_DEP_1)
	v_fma_f32 v12, -v35, v31, v28
	v_div_fmas_f32 v8, v12, v40, v31
	v_div_fixup_f32 v12, v30, v17, v21
	v_add_f32_e32 v4, v7, v4
	v_cmp_lt_f32_e32 vcc_lo, v10, v3
	s_delay_alu instid0(VALU_DEP_4) | instskip(NEXT) | instid1(VALU_DEP_4)
	v_div_fixup_f32 v6, v8, v17, v6
	v_add_f32_e32 v5, v12, v5
	v_dual_add_f32 v11, v11, v13 :: v_dual_cndmask_b32 v10, v10, v3
	v_mov_b32_e32 v12, v15
	s_delay_alu instid0(VALU_DEP_3)
	v_dual_add_f32 v14, v6, v4 :: v_dual_mov_b32 v13, v5
	v_mov_b32_e32 v8, v17
.LBB34_69:
	s_or_b32 exec_lo, exec_lo, s5
	v_cmp_gt_u32_e32 vcc_lo, 30, v1
	v_add_nc_u32_e32 v17, 2, v1
	s_mov_b32 s5, exec_lo
	s_waitcnt lgkmcnt(4)
	v_cndmask_b32_e64 v3, 0, 1, vcc_lo
	s_delay_alu instid0(VALU_DEP_1) | instskip(SKIP_1) | instid1(VALU_DEP_1)
	v_lshlrev_b32_e32 v3, 1, v3
	s_waitcnt lgkmcnt(0)
	v_add_lshl_u32 v4, v3, v1, 2
	ds_bpermute_b32 v6, v4, v8
	ds_bpermute_b32 v15, v4, v9
	;; [unrolled: 1-line block ×7, first 2 shown]
	v_cmpx_lt_u32_e64 v17, v2
	s_cbranch_execz .LBB34_71
; %bb.70:
	s_waitcnt lgkmcnt(6)
	v_add_f32_e32 v17, v8, v6
	s_waitcnt lgkmcnt(3)
	v_sub_f32_e32 v16, v16, v11
	v_cmp_gt_f32_e32 vcc_lo, v9, v15
	s_waitcnt lgkmcnt(0)
	v_dual_add_f32 v4, v14, v4 :: v_dual_mul_f32 v25, v17, v17
	s_delay_alu instid0(VALU_DEP_3) | instskip(SKIP_2) | instid1(VALU_DEP_3)
	v_mul_f32_e32 v19, v16, v16
	v_dual_cndmask_b32 v9, v9, v15 :: v_dual_mul_f32 v18, v16, v6
	v_dual_mul_f32 v28, 0x40400000, v16 :: v_dual_mul_f32 v21, v12, v6
	v_mul_f32_e32 v23, v8, v19
	v_mul_f32_e32 v24, v8, v8
	s_delay_alu instid0(VALU_DEP_4) | instskip(SKIP_1) | instid1(VALU_DEP_4)
	v_div_scale_f32 v22, null, v17, v17, v18
	v_div_scale_f32 v35, vcc_lo, v18, v17, v18
	v_mul_f32_e32 v23, v23, v6
	s_delay_alu instid0(VALU_DEP_3) | instskip(SKIP_2) | instid1(VALU_DEP_3)
	v_rcp_f32_e32 v27, v22
	v_dual_add_f32 v15, v12, v7 :: v_dual_mul_f32 v32, v17, v25
	v_fma_f32 v31, -v8, v6, v24
	v_div_scale_f32 v30, null, v17, v17, v23
	v_div_scale_f32 v36, s0, v23, v17, v23
	s_delay_alu instid0(VALU_DEP_2) | instskip(SKIP_2) | instid1(VALU_DEP_1)
	v_rcp_f32_e32 v34, v30
	s_waitcnt_depctr 0xfff
	v_fma_f32 v33, -v22, v27, 1.0
	v_dual_sub_f32 v20, v8, v6 :: v_dual_fmac_f32 v27, v33, v27
	v_fma_f32 v33, -v30, v34, 1.0
	s_delay_alu instid0(VALU_DEP_1) | instskip(SKIP_2) | instid1(VALU_DEP_2)
	v_fmac_f32_e32 v34, v33, v34
	v_mul_f32_e32 v26, v16, v19
	v_mul_f32_e32 v19, 0x40c00000, v19
	;; [unrolled: 1-line block ×3, first 2 shown]
	s_delay_alu instid0(VALU_DEP_1) | instskip(NEXT) | instid1(VALU_DEP_1)
	v_mul_f32_e32 v29, v29, v6
	v_dual_mul_f32 v20, v20, v29 :: v_dual_mul_f32 v29, v35, v27
	s_delay_alu instid0(VALU_DEP_1) | instskip(SKIP_4) | instid1(VALU_DEP_4)
	v_fma_f32 v38, -v22, v29, v35
	v_mul_f32_e32 v26, v16, v26
	v_mul_f32_e32 v16, 4.0, v16
	v_fma_f32 v21, v8, v7, -v21
	v_mul_f32_e32 v7, v24, v7
	v_dual_fmac_f32 v29, v38, v27 :: v_dual_mul_f32 v26, v8, v26
	s_delay_alu instid0(VALU_DEP_1) | instskip(NEXT) | instid1(VALU_DEP_2)
	v_fma_f32 v22, -v22, v29, v35
	v_mul_f32_e32 v26, v26, v6
	s_delay_alu instid0(VALU_DEP_2) | instskip(SKIP_2) | instid1(VALU_DEP_1)
	v_div_fmas_f32 v22, v22, v27, v29
	v_mul_f32_e32 v27, v6, v6
	s_mov_b32 vcc_lo, s0
	v_fmac_f32_e32 v7, v12, v27
	v_mul_f32_e32 v38, v36, v34
	v_div_scale_f32 v12, s1, v20, v25, v20
	s_delay_alu instid0(VALU_DEP_3) | instskip(NEXT) | instid1(VALU_DEP_3)
	v_mul_f32_e32 v7, v19, v7
	v_fma_f32 v35, -v30, v38, v36
	v_mul_f32_e32 v21, v28, v21
	v_div_scale_f32 v28, null, v25, v25, v20
	s_delay_alu instid0(VALU_DEP_3) | instskip(NEXT) | instid1(VALU_DEP_3)
	v_fmac_f32_e32 v38, v35, v34
	v_div_scale_f32 v33, null, v17, v17, v21
	s_delay_alu instid0(VALU_DEP_3) | instskip(NEXT) | instid1(VALU_DEP_2)
	v_rcp_f32_e32 v37, v28
	v_fma_f32 v19, -v30, v38, v36
	s_delay_alu instid0(VALU_DEP_2) | instskip(NEXT) | instid1(VALU_DEP_1)
	v_rcp_f32_e32 v39, v33
	v_div_fmas_f32 v19, v19, v34, v38
	s_mov_b32 vcc_lo, s1
	s_waitcnt_depctr 0xfff
	v_fma_f32 v40, -v28, v37, 1.0
	v_fma_f32 v27, -v33, v39, 1.0
	s_delay_alu instid0(VALU_DEP_2) | instskip(SKIP_2) | instid1(VALU_DEP_1)
	v_fmac_f32_e32 v37, v40, v37
	v_fmac_f32_e32 v31, v6, v6
	v_mul_f32_e32 v6, v13, v6
	v_fma_f32 v6, v8, v5, -v6
	v_fmac_f32_e32 v39, v27, v39
	v_div_scale_f32 v27, null, v25, v25, v7
	s_delay_alu instid0(VALU_DEP_3) | instskip(NEXT) | instid1(VALU_DEP_2)
	v_mul_f32_e32 v6, v16, v6
	v_rcp_f32_e32 v8, v27
	s_waitcnt_depctr 0xfff
	v_fma_f32 v38, -v27, v8, 1.0
	s_delay_alu instid0(VALU_DEP_1) | instskip(SKIP_4) | instid1(VALU_DEP_3)
	v_fmac_f32_e32 v8, v38, v8
	v_mul_f32_e32 v30, v12, v37
	v_mul_f32_e32 v26, v31, v26
	v_div_scale_f32 v31, s2, v21, v17, v21
	v_div_scale_f32 v38, s3, v7, v25, v7
	v_div_scale_f32 v24, null, v32, v32, v26
	v_fma_f32 v16, -v28, v30, v12
	s_delay_alu instid0(VALU_DEP_4) | instskip(SKIP_1) | instid1(VALU_DEP_4)
	v_mul_f32_e32 v34, v31, v39
	v_div_scale_f32 v36, s0, v26, v32, v26
	v_rcp_f32_e32 v29, v24
	s_delay_alu instid0(VALU_DEP_3) | instskip(NEXT) | instid1(VALU_DEP_3)
	v_fmac_f32_e32 v30, v16, v37
	v_fma_f32 v16, -v33, v34, v31
	s_delay_alu instid0(VALU_DEP_2) | instskip(NEXT) | instid1(VALU_DEP_2)
	v_fma_f32 v12, -v28, v30, v12
	v_fmac_f32_e32 v34, v16, v39
	v_mul_f32_e32 v16, v38, v8
	s_waitcnt_depctr 0xfff
	v_fma_f32 v35, -v24, v29, 1.0
	v_div_fmas_f32 v12, v12, v37, v30
	v_fma_f32 v30, -v33, v34, v31
	s_mov_b32 vcc_lo, s2
	s_delay_alu instid0(VALU_DEP_3) | instskip(SKIP_1) | instid1(VALU_DEP_3)
	v_fmac_f32_e32 v29, v35, v29
	v_div_scale_f32 v35, null, v17, v17, v6
	v_div_fmas_f32 v30, v30, v39, v34
	s_mov_b32 vcc_lo, s0
	s_delay_alu instid0(VALU_DEP_3) | instskip(NEXT) | instid1(VALU_DEP_3)
	v_mul_f32_e32 v41, v36, v29
	v_rcp_f32_e32 v40, v35
	v_div_fixup_f32 v12, v12, v25, v20
	s_waitcnt_depctr 0xfff
	v_fma_f32 v28, -v35, v40, 1.0
	v_add_f32_e32 v5, v13, v5
	v_fma_f32 v13, -v24, v41, v36
	s_delay_alu instid0(VALU_DEP_3) | instskip(SKIP_1) | instid1(VALU_DEP_3)
	v_fmac_f32_e32 v40, v28, v40
	v_div_scale_f32 v28, s1, v6, v17, v6
	v_fmac_f32_e32 v41, v13, v29
	v_fma_f32 v13, -v27, v16, v38
	s_delay_alu instid0(VALU_DEP_3) | instskip(NEXT) | instid1(VALU_DEP_3)
	v_mul_f32_e32 v31, v28, v40
	v_fma_f32 v24, -v24, v41, v36
	s_delay_alu instid0(VALU_DEP_3) | instskip(NEXT) | instid1(VALU_DEP_2)
	v_fmac_f32_e32 v16, v13, v8
	v_div_fmas_f32 v13, v24, v29, v41
	s_delay_alu instid0(VALU_DEP_2) | instskip(SKIP_2) | instid1(VALU_DEP_3)
	v_fma_f32 v14, -v27, v16, v38
	s_mov_b32 vcc_lo, s3
	v_fma_f32 v24, -v35, v31, v28
	v_div_fixup_f32 v13, v13, v32, v26
	s_delay_alu instid0(VALU_DEP_3)
	v_div_fmas_f32 v8, v14, v8, v16
	v_div_fixup_f32 v14, v19, v17, v23
	v_add_f32_e32 v5, v5, v12
	s_mov_b32 vcc_lo, s1
	v_add_f32_e32 v4, v4, v13
	v_div_fixup_f32 v7, v8, v25, v7
	v_add_f32_e32 v15, v15, v14
	v_fmac_f32_e32 v31, v24, v40
	v_div_fixup_f32 v13, v22, v17, v18
	s_delay_alu instid0(VALU_DEP_2) | instskip(NEXT) | instid1(VALU_DEP_1)
	v_fma_f32 v12, -v35, v31, v28
	v_div_fmas_f32 v8, v12, v40, v31
	v_div_fixup_f32 v12, v30, v17, v21
	v_add_f32_e32 v4, v7, v4
	v_cmp_lt_f32_e32 vcc_lo, v10, v3
	s_delay_alu instid0(VALU_DEP_4) | instskip(NEXT) | instid1(VALU_DEP_4)
	v_div_fixup_f32 v6, v8, v17, v6
	v_add_f32_e32 v5, v12, v5
	v_dual_add_f32 v11, v11, v13 :: v_dual_cndmask_b32 v10, v10, v3
	v_mov_b32_e32 v12, v15
	s_delay_alu instid0(VALU_DEP_3)
	v_dual_add_f32 v14, v6, v4 :: v_dual_mov_b32 v13, v5
	v_mov_b32_e32 v8, v17
.LBB34_71:
	s_or_b32 exec_lo, exec_lo, s5
	v_cmp_gt_u32_e32 vcc_lo, 28, v1
	v_add_nc_u32_e32 v17, 4, v1
	s_mov_b32 s5, exec_lo
	s_waitcnt lgkmcnt(4)
	v_cndmask_b32_e64 v3, 0, 1, vcc_lo
	s_delay_alu instid0(VALU_DEP_1) | instskip(SKIP_1) | instid1(VALU_DEP_1)
	v_lshlrev_b32_e32 v3, 2, v3
	s_waitcnt lgkmcnt(0)
	v_add_lshl_u32 v4, v3, v1, 2
	ds_bpermute_b32 v6, v4, v8
	ds_bpermute_b32 v15, v4, v9
	;; [unrolled: 1-line block ×7, first 2 shown]
	v_cmpx_lt_u32_e64 v17, v2
	s_cbranch_execz .LBB34_73
; %bb.72:
	s_waitcnt lgkmcnt(6)
	v_add_f32_e32 v17, v8, v6
	s_waitcnt lgkmcnt(3)
	v_sub_f32_e32 v16, v16, v11
	v_cmp_gt_f32_e32 vcc_lo, v9, v15
	s_waitcnt lgkmcnt(0)
	v_dual_add_f32 v4, v14, v4 :: v_dual_mul_f32 v25, v17, v17
	s_delay_alu instid0(VALU_DEP_3) | instskip(SKIP_2) | instid1(VALU_DEP_3)
	v_mul_f32_e32 v19, v16, v16
	v_dual_cndmask_b32 v9, v9, v15 :: v_dual_mul_f32 v18, v16, v6
	v_dual_mul_f32 v28, 0x40400000, v16 :: v_dual_mul_f32 v21, v12, v6
	v_mul_f32_e32 v23, v8, v19
	v_mul_f32_e32 v24, v8, v8
	s_delay_alu instid0(VALU_DEP_4) | instskip(SKIP_1) | instid1(VALU_DEP_4)
	v_div_scale_f32 v22, null, v17, v17, v18
	v_div_scale_f32 v35, vcc_lo, v18, v17, v18
	v_mul_f32_e32 v23, v23, v6
	s_delay_alu instid0(VALU_DEP_3) | instskip(SKIP_2) | instid1(VALU_DEP_3)
	v_rcp_f32_e32 v27, v22
	v_dual_add_f32 v15, v12, v7 :: v_dual_mul_f32 v32, v17, v25
	v_fma_f32 v31, -v8, v6, v24
	v_div_scale_f32 v30, null, v17, v17, v23
	v_div_scale_f32 v36, s0, v23, v17, v23
	s_delay_alu instid0(VALU_DEP_2) | instskip(SKIP_2) | instid1(VALU_DEP_1)
	v_rcp_f32_e32 v34, v30
	s_waitcnt_depctr 0xfff
	v_fma_f32 v33, -v22, v27, 1.0
	v_dual_sub_f32 v20, v8, v6 :: v_dual_fmac_f32 v27, v33, v27
	v_fma_f32 v33, -v30, v34, 1.0
	s_delay_alu instid0(VALU_DEP_1) | instskip(SKIP_2) | instid1(VALU_DEP_2)
	v_fmac_f32_e32 v34, v33, v34
	v_mul_f32_e32 v26, v16, v19
	v_mul_f32_e32 v19, 0x40c00000, v19
	;; [unrolled: 1-line block ×3, first 2 shown]
	s_delay_alu instid0(VALU_DEP_1) | instskip(NEXT) | instid1(VALU_DEP_1)
	v_mul_f32_e32 v29, v29, v6
	v_dual_mul_f32 v20, v20, v29 :: v_dual_mul_f32 v29, v35, v27
	s_delay_alu instid0(VALU_DEP_1) | instskip(SKIP_4) | instid1(VALU_DEP_4)
	v_fma_f32 v38, -v22, v29, v35
	v_mul_f32_e32 v26, v16, v26
	v_mul_f32_e32 v16, 4.0, v16
	v_fma_f32 v21, v8, v7, -v21
	v_mul_f32_e32 v7, v24, v7
	v_dual_fmac_f32 v29, v38, v27 :: v_dual_mul_f32 v26, v8, v26
	s_delay_alu instid0(VALU_DEP_1) | instskip(NEXT) | instid1(VALU_DEP_2)
	v_fma_f32 v22, -v22, v29, v35
	v_mul_f32_e32 v26, v26, v6
	s_delay_alu instid0(VALU_DEP_2) | instskip(SKIP_2) | instid1(VALU_DEP_1)
	v_div_fmas_f32 v22, v22, v27, v29
	v_mul_f32_e32 v27, v6, v6
	s_mov_b32 vcc_lo, s0
	v_fmac_f32_e32 v7, v12, v27
	v_mul_f32_e32 v38, v36, v34
	v_div_scale_f32 v12, s1, v20, v25, v20
	s_delay_alu instid0(VALU_DEP_3) | instskip(NEXT) | instid1(VALU_DEP_3)
	v_mul_f32_e32 v7, v19, v7
	v_fma_f32 v35, -v30, v38, v36
	v_mul_f32_e32 v21, v28, v21
	v_div_scale_f32 v28, null, v25, v25, v20
	s_delay_alu instid0(VALU_DEP_3) | instskip(NEXT) | instid1(VALU_DEP_3)
	v_fmac_f32_e32 v38, v35, v34
	v_div_scale_f32 v33, null, v17, v17, v21
	s_delay_alu instid0(VALU_DEP_3) | instskip(NEXT) | instid1(VALU_DEP_2)
	v_rcp_f32_e32 v37, v28
	v_fma_f32 v19, -v30, v38, v36
	s_delay_alu instid0(VALU_DEP_2) | instskip(NEXT) | instid1(VALU_DEP_1)
	v_rcp_f32_e32 v39, v33
	v_div_fmas_f32 v19, v19, v34, v38
	s_mov_b32 vcc_lo, s1
	s_waitcnt_depctr 0xfff
	v_fma_f32 v40, -v28, v37, 1.0
	v_fma_f32 v27, -v33, v39, 1.0
	s_delay_alu instid0(VALU_DEP_2) | instskip(SKIP_2) | instid1(VALU_DEP_1)
	v_fmac_f32_e32 v37, v40, v37
	v_fmac_f32_e32 v31, v6, v6
	v_mul_f32_e32 v6, v13, v6
	v_fma_f32 v6, v8, v5, -v6
	v_fmac_f32_e32 v39, v27, v39
	v_div_scale_f32 v27, null, v25, v25, v7
	s_delay_alu instid0(VALU_DEP_3) | instskip(NEXT) | instid1(VALU_DEP_2)
	v_mul_f32_e32 v6, v16, v6
	v_rcp_f32_e32 v8, v27
	s_waitcnt_depctr 0xfff
	v_fma_f32 v38, -v27, v8, 1.0
	s_delay_alu instid0(VALU_DEP_1) | instskip(SKIP_4) | instid1(VALU_DEP_3)
	v_fmac_f32_e32 v8, v38, v8
	v_mul_f32_e32 v30, v12, v37
	v_mul_f32_e32 v26, v31, v26
	v_div_scale_f32 v31, s2, v21, v17, v21
	v_div_scale_f32 v38, s3, v7, v25, v7
	v_div_scale_f32 v24, null, v32, v32, v26
	v_fma_f32 v16, -v28, v30, v12
	s_delay_alu instid0(VALU_DEP_4) | instskip(SKIP_1) | instid1(VALU_DEP_4)
	v_mul_f32_e32 v34, v31, v39
	v_div_scale_f32 v36, s0, v26, v32, v26
	v_rcp_f32_e32 v29, v24
	s_delay_alu instid0(VALU_DEP_3) | instskip(NEXT) | instid1(VALU_DEP_3)
	v_fmac_f32_e32 v30, v16, v37
	v_fma_f32 v16, -v33, v34, v31
	s_delay_alu instid0(VALU_DEP_2) | instskip(NEXT) | instid1(VALU_DEP_2)
	v_fma_f32 v12, -v28, v30, v12
	v_fmac_f32_e32 v34, v16, v39
	v_mul_f32_e32 v16, v38, v8
	s_waitcnt_depctr 0xfff
	v_fma_f32 v35, -v24, v29, 1.0
	v_div_fmas_f32 v12, v12, v37, v30
	v_fma_f32 v30, -v33, v34, v31
	s_mov_b32 vcc_lo, s2
	s_delay_alu instid0(VALU_DEP_3) | instskip(SKIP_1) | instid1(VALU_DEP_3)
	v_fmac_f32_e32 v29, v35, v29
	v_div_scale_f32 v35, null, v17, v17, v6
	v_div_fmas_f32 v30, v30, v39, v34
	s_mov_b32 vcc_lo, s0
	s_delay_alu instid0(VALU_DEP_3) | instskip(NEXT) | instid1(VALU_DEP_3)
	v_mul_f32_e32 v41, v36, v29
	v_rcp_f32_e32 v40, v35
	v_div_fixup_f32 v12, v12, v25, v20
	s_waitcnt_depctr 0xfff
	v_fma_f32 v28, -v35, v40, 1.0
	v_add_f32_e32 v5, v13, v5
	v_fma_f32 v13, -v24, v41, v36
	s_delay_alu instid0(VALU_DEP_3) | instskip(SKIP_1) | instid1(VALU_DEP_3)
	v_fmac_f32_e32 v40, v28, v40
	v_div_scale_f32 v28, s1, v6, v17, v6
	v_fmac_f32_e32 v41, v13, v29
	v_fma_f32 v13, -v27, v16, v38
	s_delay_alu instid0(VALU_DEP_3) | instskip(NEXT) | instid1(VALU_DEP_3)
	v_mul_f32_e32 v31, v28, v40
	v_fma_f32 v24, -v24, v41, v36
	s_delay_alu instid0(VALU_DEP_3) | instskip(NEXT) | instid1(VALU_DEP_2)
	v_fmac_f32_e32 v16, v13, v8
	v_div_fmas_f32 v13, v24, v29, v41
	s_delay_alu instid0(VALU_DEP_2) | instskip(SKIP_2) | instid1(VALU_DEP_3)
	v_fma_f32 v14, -v27, v16, v38
	s_mov_b32 vcc_lo, s3
	v_fma_f32 v24, -v35, v31, v28
	v_div_fixup_f32 v13, v13, v32, v26
	s_delay_alu instid0(VALU_DEP_3)
	v_div_fmas_f32 v8, v14, v8, v16
	v_div_fixup_f32 v14, v19, v17, v23
	v_add_f32_e32 v5, v5, v12
	s_mov_b32 vcc_lo, s1
	v_add_f32_e32 v4, v4, v13
	v_div_fixup_f32 v7, v8, v25, v7
	v_add_f32_e32 v15, v15, v14
	v_fmac_f32_e32 v31, v24, v40
	v_div_fixup_f32 v13, v22, v17, v18
	s_delay_alu instid0(VALU_DEP_2) | instskip(NEXT) | instid1(VALU_DEP_1)
	v_fma_f32 v12, -v35, v31, v28
	v_div_fmas_f32 v8, v12, v40, v31
	v_div_fixup_f32 v12, v30, v17, v21
	v_add_f32_e32 v4, v7, v4
	v_cmp_lt_f32_e32 vcc_lo, v10, v3
	s_delay_alu instid0(VALU_DEP_4) | instskip(NEXT) | instid1(VALU_DEP_4)
	v_div_fixup_f32 v6, v8, v17, v6
	v_add_f32_e32 v5, v12, v5
	v_dual_add_f32 v11, v11, v13 :: v_dual_cndmask_b32 v10, v10, v3
	v_mov_b32_e32 v12, v15
	s_delay_alu instid0(VALU_DEP_3)
	v_dual_add_f32 v14, v6, v4 :: v_dual_mov_b32 v13, v5
	v_mov_b32_e32 v8, v17
.LBB34_73:
	s_or_b32 exec_lo, exec_lo, s5
	v_cmp_gt_u32_e32 vcc_lo, 24, v1
	v_add_nc_u32_e32 v17, 8, v1
	s_mov_b32 s5, exec_lo
	s_waitcnt lgkmcnt(4)
	v_cndmask_b32_e64 v3, 0, 1, vcc_lo
	s_delay_alu instid0(VALU_DEP_1) | instskip(SKIP_1) | instid1(VALU_DEP_1)
	v_lshlrev_b32_e32 v3, 3, v3
	s_waitcnt lgkmcnt(0)
	v_add_lshl_u32 v4, v3, v1, 2
	ds_bpermute_b32 v6, v4, v8
	ds_bpermute_b32 v15, v4, v9
	;; [unrolled: 1-line block ×7, first 2 shown]
	v_cmpx_lt_u32_e64 v17, v2
	s_cbranch_execz .LBB34_75
; %bb.74:
	s_waitcnt lgkmcnt(6)
	v_add_f32_e32 v17, v8, v6
	s_waitcnt lgkmcnt(3)
	v_sub_f32_e32 v16, v16, v11
	v_cmp_gt_f32_e32 vcc_lo, v9, v15
	s_waitcnt lgkmcnt(0)
	v_dual_add_f32 v4, v14, v4 :: v_dual_mul_f32 v25, v17, v17
	s_delay_alu instid0(VALU_DEP_3) | instskip(SKIP_2) | instid1(VALU_DEP_3)
	v_mul_f32_e32 v19, v16, v16
	v_dual_cndmask_b32 v9, v9, v15 :: v_dual_mul_f32 v18, v16, v6
	v_dual_mul_f32 v28, 0x40400000, v16 :: v_dual_mul_f32 v21, v12, v6
	v_mul_f32_e32 v23, v8, v19
	v_mul_f32_e32 v24, v8, v8
	s_delay_alu instid0(VALU_DEP_4) | instskip(SKIP_1) | instid1(VALU_DEP_4)
	v_div_scale_f32 v22, null, v17, v17, v18
	v_div_scale_f32 v35, vcc_lo, v18, v17, v18
	v_mul_f32_e32 v23, v23, v6
	s_delay_alu instid0(VALU_DEP_3) | instskip(SKIP_2) | instid1(VALU_DEP_3)
	v_rcp_f32_e32 v27, v22
	v_dual_add_f32 v15, v12, v7 :: v_dual_mul_f32 v32, v17, v25
	v_fma_f32 v31, -v8, v6, v24
	v_div_scale_f32 v30, null, v17, v17, v23
	v_div_scale_f32 v36, s0, v23, v17, v23
	s_delay_alu instid0(VALU_DEP_2) | instskip(SKIP_2) | instid1(VALU_DEP_1)
	v_rcp_f32_e32 v34, v30
	s_waitcnt_depctr 0xfff
	v_fma_f32 v33, -v22, v27, 1.0
	v_dual_sub_f32 v20, v8, v6 :: v_dual_fmac_f32 v27, v33, v27
	v_fma_f32 v33, -v30, v34, 1.0
	s_delay_alu instid0(VALU_DEP_1) | instskip(SKIP_2) | instid1(VALU_DEP_2)
	v_fmac_f32_e32 v34, v33, v34
	v_mul_f32_e32 v26, v16, v19
	v_mul_f32_e32 v19, 0x40c00000, v19
	;; [unrolled: 1-line block ×3, first 2 shown]
	s_delay_alu instid0(VALU_DEP_1) | instskip(NEXT) | instid1(VALU_DEP_1)
	v_mul_f32_e32 v29, v29, v6
	v_dual_mul_f32 v20, v20, v29 :: v_dual_mul_f32 v29, v35, v27
	s_delay_alu instid0(VALU_DEP_1) | instskip(SKIP_4) | instid1(VALU_DEP_4)
	v_fma_f32 v38, -v22, v29, v35
	v_mul_f32_e32 v26, v16, v26
	v_mul_f32_e32 v16, 4.0, v16
	v_fma_f32 v21, v8, v7, -v21
	v_mul_f32_e32 v7, v24, v7
	v_dual_fmac_f32 v29, v38, v27 :: v_dual_mul_f32 v26, v8, v26
	s_delay_alu instid0(VALU_DEP_1) | instskip(NEXT) | instid1(VALU_DEP_2)
	v_fma_f32 v22, -v22, v29, v35
	v_mul_f32_e32 v26, v26, v6
	s_delay_alu instid0(VALU_DEP_2) | instskip(SKIP_2) | instid1(VALU_DEP_1)
	v_div_fmas_f32 v22, v22, v27, v29
	v_mul_f32_e32 v27, v6, v6
	s_mov_b32 vcc_lo, s0
	v_fmac_f32_e32 v7, v12, v27
	v_mul_f32_e32 v38, v36, v34
	v_div_scale_f32 v12, s1, v20, v25, v20
	s_delay_alu instid0(VALU_DEP_3) | instskip(NEXT) | instid1(VALU_DEP_3)
	v_mul_f32_e32 v7, v19, v7
	v_fma_f32 v35, -v30, v38, v36
	v_mul_f32_e32 v21, v28, v21
	v_div_scale_f32 v28, null, v25, v25, v20
	s_delay_alu instid0(VALU_DEP_3) | instskip(NEXT) | instid1(VALU_DEP_3)
	v_fmac_f32_e32 v38, v35, v34
	v_div_scale_f32 v33, null, v17, v17, v21
	s_delay_alu instid0(VALU_DEP_3) | instskip(NEXT) | instid1(VALU_DEP_2)
	v_rcp_f32_e32 v37, v28
	v_fma_f32 v19, -v30, v38, v36
	s_delay_alu instid0(VALU_DEP_2) | instskip(NEXT) | instid1(VALU_DEP_1)
	v_rcp_f32_e32 v39, v33
	v_div_fmas_f32 v19, v19, v34, v38
	s_mov_b32 vcc_lo, s1
	s_waitcnt_depctr 0xfff
	v_fma_f32 v40, -v28, v37, 1.0
	v_fma_f32 v27, -v33, v39, 1.0
	s_delay_alu instid0(VALU_DEP_2) | instskip(SKIP_2) | instid1(VALU_DEP_1)
	v_fmac_f32_e32 v37, v40, v37
	v_fmac_f32_e32 v31, v6, v6
	v_mul_f32_e32 v6, v13, v6
	v_fma_f32 v6, v8, v5, -v6
	v_fmac_f32_e32 v39, v27, v39
	v_div_scale_f32 v27, null, v25, v25, v7
	s_delay_alu instid0(VALU_DEP_3) | instskip(NEXT) | instid1(VALU_DEP_2)
	v_mul_f32_e32 v6, v16, v6
	v_rcp_f32_e32 v8, v27
	s_waitcnt_depctr 0xfff
	v_fma_f32 v38, -v27, v8, 1.0
	s_delay_alu instid0(VALU_DEP_1) | instskip(SKIP_4) | instid1(VALU_DEP_3)
	v_fmac_f32_e32 v8, v38, v8
	v_mul_f32_e32 v30, v12, v37
	v_mul_f32_e32 v26, v31, v26
	v_div_scale_f32 v31, s2, v21, v17, v21
	v_div_scale_f32 v38, s3, v7, v25, v7
	v_div_scale_f32 v24, null, v32, v32, v26
	v_fma_f32 v16, -v28, v30, v12
	s_delay_alu instid0(VALU_DEP_4) | instskip(SKIP_1) | instid1(VALU_DEP_4)
	v_mul_f32_e32 v34, v31, v39
	v_div_scale_f32 v36, s0, v26, v32, v26
	v_rcp_f32_e32 v29, v24
	s_delay_alu instid0(VALU_DEP_3) | instskip(NEXT) | instid1(VALU_DEP_3)
	v_fmac_f32_e32 v30, v16, v37
	v_fma_f32 v16, -v33, v34, v31
	s_delay_alu instid0(VALU_DEP_2) | instskip(NEXT) | instid1(VALU_DEP_2)
	v_fma_f32 v12, -v28, v30, v12
	v_fmac_f32_e32 v34, v16, v39
	v_mul_f32_e32 v16, v38, v8
	s_waitcnt_depctr 0xfff
	v_fma_f32 v35, -v24, v29, 1.0
	v_div_fmas_f32 v12, v12, v37, v30
	v_fma_f32 v30, -v33, v34, v31
	s_mov_b32 vcc_lo, s2
	s_delay_alu instid0(VALU_DEP_3) | instskip(SKIP_1) | instid1(VALU_DEP_3)
	v_fmac_f32_e32 v29, v35, v29
	v_div_scale_f32 v35, null, v17, v17, v6
	v_div_fmas_f32 v30, v30, v39, v34
	s_mov_b32 vcc_lo, s0
	s_delay_alu instid0(VALU_DEP_3) | instskip(NEXT) | instid1(VALU_DEP_3)
	v_mul_f32_e32 v41, v36, v29
	v_rcp_f32_e32 v40, v35
	v_div_fixup_f32 v12, v12, v25, v20
	s_waitcnt_depctr 0xfff
	v_fma_f32 v28, -v35, v40, 1.0
	v_add_f32_e32 v5, v13, v5
	v_fma_f32 v13, -v24, v41, v36
	s_delay_alu instid0(VALU_DEP_3) | instskip(SKIP_1) | instid1(VALU_DEP_3)
	v_fmac_f32_e32 v40, v28, v40
	v_div_scale_f32 v28, s1, v6, v17, v6
	v_fmac_f32_e32 v41, v13, v29
	v_fma_f32 v13, -v27, v16, v38
	s_delay_alu instid0(VALU_DEP_3) | instskip(NEXT) | instid1(VALU_DEP_3)
	v_mul_f32_e32 v31, v28, v40
	v_fma_f32 v24, -v24, v41, v36
	s_delay_alu instid0(VALU_DEP_3) | instskip(NEXT) | instid1(VALU_DEP_2)
	v_fmac_f32_e32 v16, v13, v8
	v_div_fmas_f32 v13, v24, v29, v41
	s_delay_alu instid0(VALU_DEP_2) | instskip(SKIP_2) | instid1(VALU_DEP_3)
	v_fma_f32 v14, -v27, v16, v38
	s_mov_b32 vcc_lo, s3
	v_fma_f32 v24, -v35, v31, v28
	v_div_fixup_f32 v13, v13, v32, v26
	s_delay_alu instid0(VALU_DEP_3)
	v_div_fmas_f32 v8, v14, v8, v16
	v_div_fixup_f32 v14, v19, v17, v23
	v_add_f32_e32 v5, v5, v12
	s_mov_b32 vcc_lo, s1
	v_add_f32_e32 v4, v4, v13
	v_div_fixup_f32 v7, v8, v25, v7
	v_add_f32_e32 v15, v15, v14
	v_fmac_f32_e32 v31, v24, v40
	v_div_fixup_f32 v13, v22, v17, v18
	s_delay_alu instid0(VALU_DEP_2) | instskip(NEXT) | instid1(VALU_DEP_1)
	v_fma_f32 v12, -v35, v31, v28
	v_div_fmas_f32 v8, v12, v40, v31
	v_div_fixup_f32 v12, v30, v17, v21
	v_add_f32_e32 v4, v7, v4
	v_cmp_lt_f32_e32 vcc_lo, v10, v3
	s_delay_alu instid0(VALU_DEP_4) | instskip(NEXT) | instid1(VALU_DEP_4)
	v_div_fixup_f32 v6, v8, v17, v6
	v_add_f32_e32 v5, v12, v5
	v_dual_add_f32 v11, v11, v13 :: v_dual_cndmask_b32 v10, v10, v3
	v_mov_b32_e32 v12, v15
	s_delay_alu instid0(VALU_DEP_3)
	v_dual_add_f32 v14, v6, v4 :: v_dual_mov_b32 v13, v5
	v_mov_b32_e32 v8, v17
.LBB34_75:
	s_or_b32 exec_lo, exec_lo, s5
	v_cmp_gt_u32_e32 vcc_lo, 16, v1
	v_add_nc_u32_e32 v17, 16, v1
	s_mov_b32 s5, exec_lo
	s_waitcnt lgkmcnt(4)
	v_cndmask_b32_e64 v3, 0, 1, vcc_lo
	s_delay_alu instid0(VALU_DEP_1) | instskip(SKIP_1) | instid1(VALU_DEP_1)
	v_lshlrev_b32_e32 v3, 4, v3
	s_waitcnt lgkmcnt(0)
	v_add_lshl_u32 v4, v3, v1, 2
	ds_bpermute_b32 v6, v4, v8
	ds_bpermute_b32 v15, v4, v9
	;; [unrolled: 1-line block ×7, first 2 shown]
	v_cmpx_lt_u32_e64 v17, v2
	s_cbranch_execz .LBB34_77
; %bb.76:
	s_waitcnt lgkmcnt(6)
	v_mul_f32_e32 v20, v12, v6
	s_waitcnt lgkmcnt(5)
	v_cmp_gt_f32_e32 vcc_lo, v9, v15
	s_waitcnt lgkmcnt(0)
	v_add_f32_e32 v4, v14, v4
	v_fma_f32 v20, v8, v7, -v20
	v_sub_f32_e32 v19, v8, v6
	v_sub_f32_e32 v2, v16, v11
	v_dual_add_f32 v16, v8, v6 :: v_dual_cndmask_b32 v9, v9, v15
	s_delay_alu instid0(VALU_DEP_2) | instskip(NEXT) | instid1(VALU_DEP_1)
	v_dual_add_f32 v15, v12, v7 :: v_dual_mul_f32 v18, v2, v2
	v_dual_mul_f32 v24, v16, v16 :: v_dual_mul_f32 v25, v2, v18
	v_mul_f32_e32 v22, v8, v18
	v_mul_f32_e32 v23, v8, v8
	s_delay_alu instid0(VALU_DEP_3) | instskip(NEXT) | instid1(VALU_DEP_3)
	v_mul_f32_e32 v28, v8, v25
	v_mul_f32_e32 v22, v22, v6
	s_delay_alu instid0(VALU_DEP_3) | instskip(NEXT) | instid1(VALU_DEP_3)
	v_fma_f32 v30, -v8, v6, v23
	v_dual_mul_f32 v7, v23, v7 :: v_dual_mul_f32 v28, v28, v6
	s_delay_alu instid0(VALU_DEP_3) | instskip(NEXT) | instid1(VALU_DEP_3)
	v_div_scale_f32 v29, null, v16, v16, v22
	v_fmac_f32_e32 v30, v6, v6
	v_div_scale_f32 v35, s0, v22, v16, v22
	s_delay_alu instid0(VALU_DEP_4) | instskip(SKIP_3) | instid1(VALU_DEP_2)
	v_mul_f32_e32 v19, v19, v28
	v_mul_f32_e32 v17, v2, v6
	;; [unrolled: 1-line block ×3, first 2 shown]
	v_rcp_f32_e32 v33, v29
	v_div_scale_f32 v21, null, v16, v16, v17
	s_delay_alu instid0(VALU_DEP_2) | instskip(SKIP_1) | instid1(VALU_DEP_3)
	v_mul_f32_e32 v20, v27, v20
	v_div_scale_f32 v27, null, v24, v24, v19
	v_rcp_f32_e32 v26, v21
	v_div_scale_f32 v34, vcc_lo, v17, v16, v17
	s_delay_alu instid0(VALU_DEP_2) | instskip(SKIP_3) | instid1(VALU_DEP_1)
	v_rcp_f32_e32 v36, v27
	s_waitcnt_depctr 0xfff
	v_fma_f32 v32, -v21, v26, 1.0
	v_fma_f32 v39, -v27, v36, 1.0
	v_dual_fmac_f32 v36, v39, v36 :: v_dual_mul_f32 v25, v2, v25
	s_delay_alu instid0(VALU_DEP_1) | instskip(NEXT) | instid1(VALU_DEP_1)
	v_mul_f32_e32 v25, v8, v25
	v_mul_f32_e32 v25, v25, v6
	v_fmac_f32_e32 v26, v32, v26
	v_fma_f32 v32, -v29, v33, 1.0
	s_delay_alu instid0(VALU_DEP_3) | instskip(NEXT) | instid1(VALU_DEP_3)
	v_mul_f32_e32 v25, v30, v25
	v_dual_mul_f32 v31, v16, v24 :: v_dual_mul_f32 v28, v34, v26
	v_div_scale_f32 v30, s2, v20, v16, v20
	s_delay_alu instid0(VALU_DEP_2) | instskip(NEXT) | instid1(VALU_DEP_3)
	v_div_scale_f32 v23, null, v31, v31, v25
	v_fma_f32 v37, -v21, v28, v34
	v_fmac_f32_e32 v33, v32, v33
	v_div_scale_f32 v32, null, v16, v16, v20
	s_delay_alu instid0(VALU_DEP_2) | instskip(NEXT) | instid1(VALU_DEP_2)
	v_dual_fmac_f32 v28, v37, v26 :: v_dual_mul_f32 v37, v35, v33
	v_rcp_f32_e32 v38, v32
	s_delay_alu instid0(VALU_DEP_1) | instskip(NEXT) | instid1(VALU_DEP_2)
	v_fma_f32 v21, -v21, v28, v34
	v_fma_f32 v34, -v29, v37, v35
	s_delay_alu instid0(VALU_DEP_2) | instskip(SKIP_2) | instid1(VALU_DEP_3)
	v_div_fmas_f32 v21, v21, v26, v28
	v_mul_f32_e32 v26, v6, v6
	v_rcp_f32_e32 v28, v23
	v_dual_fmac_f32 v37, v34, v33 :: v_dual_mul_f32 v6, v13, v6
	s_mov_b32 vcc_lo, s0
	s_delay_alu instid0(VALU_DEP_1) | instskip(SKIP_3) | instid1(VALU_DEP_1)
	v_fma_f32 v6, v8, v5, -v6
	v_add_f32_e32 v5, v13, v5
	s_waitcnt_depctr 0xfff
	v_fma_f32 v34, -v23, v28, 1.0
	v_dual_fmac_f32 v28, v34, v28 :: v_dual_fmac_f32 v7, v12, v26
	v_div_scale_f32 v12, s1, v19, v24, v19
	v_mul_f32_e32 v18, 0x40c00000, v18
	v_fma_f32 v26, -v32, v38, 1.0
	s_delay_alu instid0(VALU_DEP_2) | instskip(NEXT) | instid1(VALU_DEP_2)
	v_mul_f32_e32 v7, v18, v7
	v_fmac_f32_e32 v38, v26, v38
	v_fma_f32 v18, -v29, v37, v35
	v_dual_mul_f32 v29, v12, v36 :: v_dual_mul_f32 v2, 4.0, v2
	s_delay_alu instid0(VALU_DEP_4) | instskip(NEXT) | instid1(VALU_DEP_3)
	v_div_scale_f32 v26, null, v24, v24, v7
	v_div_fmas_f32 v18, v18, v33, v37
	v_div_scale_f32 v35, s0, v25, v31, v25
	s_delay_alu instid0(VALU_DEP_3) | instskip(SKIP_1) | instid1(VALU_DEP_1)
	v_rcp_f32_e32 v8, v26
	s_mov_b32 vcc_lo, s1
	v_mul_f32_e32 v40, v35, v28
	s_waitcnt_depctr 0xfff
	v_fma_f32 v37, -v26, v8, 1.0
	s_delay_alu instid0(VALU_DEP_1) | instskip(SKIP_3) | instid1(VALU_DEP_3)
	v_dual_mul_f32 v33, v30, v38 :: v_dual_fmac_f32 v8, v37, v8
	v_div_scale_f32 v37, s3, v7, v24, v7
	v_mul_f32_e32 v2, v2, v6
	v_fma_f32 v6, -v27, v29, v12
	v_mul_f32_e32 v13, v37, v8
	s_delay_alu instid0(VALU_DEP_3) | instskip(NEXT) | instid1(VALU_DEP_3)
	v_div_scale_f32 v34, null, v16, v16, v2
	v_fmac_f32_e32 v29, v6, v36
	v_fma_f32 v6, -v32, v33, v30
	s_delay_alu instid0(VALU_DEP_3) | instskip(NEXT) | instid1(VALU_DEP_2)
	v_rcp_f32_e32 v39, v34
	v_fma_f32 v12, -v27, v29, v12
	s_delay_alu instid0(VALU_DEP_1) | instskip(SKIP_4) | instid1(VALU_DEP_2)
	v_div_fmas_f32 v12, v12, v36, v29
	s_mov_b32 vcc_lo, s2
	s_waitcnt_depctr 0xfff
	v_fma_f32 v27, -v34, v39, 1.0
	v_div_fixup_f32 v12, v12, v24, v19
	v_fmac_f32_e32 v39, v27, v39
	v_div_scale_f32 v27, s1, v2, v16, v2
	v_fmac_f32_e32 v33, v6, v38
	v_fma_f32 v6, -v23, v40, v35
	s_delay_alu instid0(VALU_DEP_2) | instskip(NEXT) | instid1(VALU_DEP_4)
	v_fma_f32 v29, -v32, v33, v30
	v_mul_f32_e32 v30, v27, v39
	s_delay_alu instid0(VALU_DEP_3) | instskip(SKIP_1) | instid1(VALU_DEP_4)
	v_fmac_f32_e32 v40, v6, v28
	v_fma_f32 v6, -v26, v13, v37
	v_div_fmas_f32 v29, v29, v38, v33
	s_mov_b32 vcc_lo, s0
	s_delay_alu instid0(VALU_DEP_3) | instskip(NEXT) | instid1(VALU_DEP_3)
	v_fma_f32 v23, -v23, v40, v35
	v_fmac_f32_e32 v13, v6, v8
	s_delay_alu instid0(VALU_DEP_2) | instskip(SKIP_2) | instid1(VALU_DEP_2)
	v_div_fmas_f32 v6, v23, v28, v40
	v_fma_f32 v23, -v34, v30, v27
	s_mov_b32 vcc_lo, s3
	v_div_fixup_f32 v6, v6, v31, v25
	s_delay_alu instid0(VALU_DEP_2) | instskip(SKIP_1) | instid1(VALU_DEP_3)
	v_fmac_f32_e32 v30, v23, v39
	v_fma_f32 v14, -v26, v13, v37
	v_dual_add_f32 v5, v5, v12 :: v_dual_add_f32 v4, v4, v6
	s_delay_alu instid0(VALU_DEP_3) | instskip(NEXT) | instid1(VALU_DEP_3)
	v_fma_f32 v12, -v34, v30, v27
	v_div_fmas_f32 v8, v14, v8, v13
	s_mov_b32 vcc_lo, s1
	v_div_fixup_f32 v13, v18, v16, v22
	s_delay_alu instid0(VALU_DEP_2) | instskip(SKIP_3) | instid1(VALU_DEP_4)
	v_div_fixup_f32 v6, v8, v24, v7
	v_div_fmas_f32 v7, v12, v39, v30
	v_div_fixup_f32 v8, v29, v16, v20
	v_div_fixup_f32 v12, v21, v16, v17
	v_dual_add_f32 v15, v15, v13 :: v_dual_add_f32 v4, v6, v4
	s_delay_alu instid0(VALU_DEP_4) | instskip(NEXT) | instid1(VALU_DEP_4)
	v_div_fixup_f32 v2, v7, v16, v2
	v_add_f32_e32 v13, v8, v5
	v_cmp_lt_f32_e32 vcc_lo, v10, v3
	v_add_f32_e32 v11, v11, v12
	v_mov_b32_e32 v12, v15
	v_add_f32_e32 v14, v2, v4
	v_mov_b32_e32 v8, v16
	v_cndmask_b32_e32 v10, v10, v3, vcc_lo
.LBB34_77:
	s_or_b32 exec_lo, exec_lo, s5
	s_delay_alu instid0(SALU_CYCLE_1)
	s_mov_b32 s0, exec_lo
	v_cmpx_eq_u32_e32 0, v1
	s_cbranch_execz .LBB34_79
; %bb.78:
	v_lshrrev_b32_e32 v2, 5, v0
	s_delay_alu instid0(VALU_DEP_1)
	v_mul_u32_u24_e32 v2, 28, v2
	ds_store_2addr_b32 v2, v8, v9 offset1:1
	ds_store_2addr_b32 v2, v10, v11 offset0:2 offset1:3
	ds_store_2addr_b32 v2, v12, v13 offset0:4 offset1:5
	ds_store_b32 v2, v14 offset:24
.LBB34_79:
	s_or_b32 exec_lo, exec_lo, s0
	s_delay_alu instid0(SALU_CYCLE_1)
	s_mov_b32 s5, exec_lo
	s_waitcnt lgkmcnt(0)
	s_barrier
	buffer_gl0_inv
	v_cmpx_gt_u32_e32 8, v0
	s_cbranch_execz .LBB34_87
; %bb.80:
	v_mul_u32_u24_e32 v3, 28, v1
	s_add_i32 s4, s4, 31
	ds_load_2addr_b32 v[8:9], v3 offset1:1
	ds_load_2addr_b32 v[10:11], v3 offset0:2 offset1:3
	ds_load_2addr_b32 v[12:13], v3 offset0:4 offset1:5
	ds_load_b32 v14, v3 offset:24
	v_and_b32_e32 v2, 7, v1
	s_lshr_b32 s4, s4, 5
	s_waitcnt lgkmcnt(1)
	v_mov_b32_e32 v17, v13
	s_delay_alu instid0(VALU_DEP_2) | instskip(SKIP_2) | instid1(VALU_DEP_1)
	v_cmp_ne_u32_e32 vcc_lo, 7, v2
	v_mov_b32_e32 v16, v12
	v_add_co_ci_u32_e32 v3, vcc_lo, 0, v1, vcc_lo
	v_lshlrev_b32_e32 v3, 2, v3
	ds_bpermute_b32 v7, v3, v8
	ds_bpermute_b32 v18, v3, v9
	;; [unrolled: 1-line block ×6, first 2 shown]
	s_waitcnt lgkmcnt(6)
	ds_bpermute_b32 v5, v3, v14
	v_add_nc_u32_e32 v3, 1, v2
	s_delay_alu instid0(VALU_DEP_1)
	v_cmp_gt_u32_e32 vcc_lo, s4, v3
	v_mov_b32_e32 v3, v8
	s_and_saveexec_b32 s6, vcc_lo
	s_cbranch_execz .LBB34_82
; %bb.81:
	s_waitcnt lgkmcnt(5)
	v_cmp_gt_f32_e32 vcc_lo, v9, v18
	s_waitcnt lgkmcnt(3)
	v_sub_f32_e32 v16, v19, v11
	s_waitcnt lgkmcnt(0)
	v_dual_sub_f32 v20, v8, v7 :: v_dual_add_f32 v5, v14, v5
	v_cndmask_b32_e32 v9, v9, v18, vcc_lo
	s_delay_alu instid0(VALU_DEP_3) | instskip(SKIP_3) | instid1(VALU_DEP_4)
	v_dual_add_f32 v3, v8, v7 :: v_dual_mul_f32 v28, 0x40400000, v16
	v_mul_f32_e32 v24, v8, v8
	v_mul_f32_e32 v19, v16, v16
	;; [unrolled: 1-line block ×4, first 2 shown]
	v_add_f32_e32 v17, v12, v15
	v_fma_f32 v31, -v8, v7, v24
	s_delay_alu instid0(VALU_DEP_4) | instskip(NEXT) | instid1(VALU_DEP_4)
	v_div_scale_f32 v22, null, v3, v3, v18
	v_mul_f32_e32 v32, v3, v25
	s_delay_alu instid0(VALU_DEP_3) | instskip(SKIP_1) | instid1(VALU_DEP_4)
	v_fmac_f32_e32 v31, v7, v7
	v_mul_f32_e32 v23, v8, v19
	v_rcp_f32_e32 v27, v22
	v_div_scale_f32 v35, vcc_lo, v18, v3, v18
	s_delay_alu instid0(VALU_DEP_2) | instskip(NEXT) | instid1(VALU_DEP_1)
	v_mul_f32_e32 v23, v23, v7
	v_div_scale_f32 v30, null, v3, v3, v23
	s_waitcnt_depctr 0xfff
	v_fma_f32 v33, -v22, v27, 1.0
	v_rcp_f32_e32 v34, v30
	s_delay_alu instid0(VALU_DEP_1) | instskip(SKIP_2) | instid1(VALU_DEP_1)
	v_fmac_f32_e32 v27, v33, v27
	s_waitcnt_depctr 0xfff
	v_fma_f32 v33, -v30, v34, 1.0
	v_fmac_f32_e32 v34, v33, v34
	v_mul_f32_e32 v26, v16, v19
	v_mul_f32_e32 v19, 0x40c00000, v19
	s_delay_alu instid0(VALU_DEP_2) | instskip(SKIP_2) | instid1(VALU_DEP_2)
	v_mul_f32_e32 v29, v8, v26
	v_mul_f32_e32 v26, v16, v26
	v_mul_f32_e32 v16, 4.0, v16
	v_mul_f32_e32 v26, v8, v26
	s_delay_alu instid0(VALU_DEP_1) | instskip(SKIP_1) | instid1(VALU_DEP_1)
	v_mul_f32_e32 v26, v26, v7
	v_mul_f32_e32 v29, v29, v7
	v_dual_mul_f32 v20, v20, v29 :: v_dual_mul_f32 v29, v35, v27
	v_div_scale_f32 v36, s0, v23, v3, v23
	s_delay_alu instid0(VALU_DEP_2) | instskip(NEXT) | instid1(VALU_DEP_1)
	v_fma_f32 v38, -v22, v29, v35
	v_dual_fmac_f32 v29, v38, v27 :: v_dual_mul_f32 v38, v36, v34
	s_delay_alu instid0(VALU_DEP_1) | instskip(NEXT) | instid1(VALU_DEP_2)
	v_fma_f32 v22, -v22, v29, v35
	v_fma_f32 v35, -v30, v38, v36
	v_mul_f32_e32 v21, v12, v7
	s_delay_alu instid0(VALU_DEP_3) | instskip(NEXT) | instid1(VALU_DEP_3)
	v_div_fmas_f32 v22, v22, v27, v29
	v_fmac_f32_e32 v38, v35, v34
	s_delay_alu instid0(VALU_DEP_3)
	v_fma_f32 v21, v8, v15, -v21
	v_mul_f32_e32 v27, v7, v7
	v_mul_f32_e32 v15, v24, v15
	;; [unrolled: 1-line block ×3, first 2 shown]
	s_mov_b32 vcc_lo, s0
	v_mul_f32_e32 v21, v28, v21
	v_div_scale_f32 v28, null, v25, v25, v20
	s_delay_alu instid0(VALU_DEP_3) | instskip(SKIP_1) | instid1(VALU_DEP_4)
	v_fma_f32 v7, v8, v6, -v7
	v_add_f32_e32 v6, v13, v6
	v_div_scale_f32 v33, null, v3, v3, v21
	s_delay_alu instid0(VALU_DEP_4) | instskip(SKIP_2) | instid1(VALU_DEP_3)
	v_rcp_f32_e32 v37, v28
	v_fmac_f32_e32 v15, v12, v27
	v_div_scale_f32 v12, s1, v20, v25, v20
	v_rcp_f32_e32 v39, v33
	v_mul_f32_e32 v7, v16, v7
	s_delay_alu instid0(VALU_DEP_3) | instskip(SKIP_1) | instid1(TRANS32_DEP_2)
	v_mul_f32_e32 v15, v19, v15
	v_fma_f32 v19, -v30, v38, v36
	v_fma_f32 v40, -v28, v37, 1.0
	s_delay_alu instid0(VALU_DEP_2) | instskip(SKIP_3) | instid1(VALU_DEP_1)
	v_div_fmas_f32 v19, v19, v34, v38
	s_mov_b32 vcc_lo, s1
	s_waitcnt_depctr 0xfff
	v_fma_f32 v27, -v33, v39, 1.0
	v_fmac_f32_e32 v39, v27, v39
	v_fmac_f32_e32 v37, v40, v37
	s_delay_alu instid0(VALU_DEP_1) | instskip(NEXT) | instid1(VALU_DEP_1)
	v_mul_f32_e32 v30, v12, v37
	v_fma_f32 v16, -v28, v30, v12
	s_delay_alu instid0(VALU_DEP_1) | instskip(SKIP_2) | instid1(VALU_DEP_3)
	v_fmac_f32_e32 v30, v16, v37
	v_mul_f32_e32 v26, v31, v26
	v_div_scale_f32 v31, s2, v21, v3, v21
	v_fma_f32 v12, -v28, v30, v12
	s_delay_alu instid0(VALU_DEP_3) | instskip(NEXT) | instid1(VALU_DEP_3)
	v_div_scale_f32 v24, null, v32, v32, v26
	v_mul_f32_e32 v34, v31, v39
	v_div_scale_f32 v36, s0, v26, v32, v26
	s_delay_alu instid0(VALU_DEP_3) | instskip(SKIP_1) | instid1(VALU_DEP_3)
	v_rcp_f32_e32 v29, v24
	v_div_fmas_f32 v12, v12, v37, v30
	v_fma_f32 v16, -v33, v34, v31
	s_mov_b32 vcc_lo, s2
	s_delay_alu instid0(VALU_DEP_2) | instskip(SKIP_3) | instid1(VALU_DEP_2)
	v_div_fixup_f32 v12, v12, v25, v20
	s_waitcnt_depctr 0xfff
	v_fma_f32 v35, -v24, v29, 1.0
	v_add_f32_e32 v6, v6, v12
	v_dual_fmac_f32 v34, v16, v39 :: v_dual_fmac_f32 v29, v35, v29
	v_div_scale_f32 v35, null, v3, v3, v7
	s_delay_alu instid0(VALU_DEP_2) | instskip(NEXT) | instid1(VALU_DEP_3)
	v_fma_f32 v30, -v33, v34, v31
	v_mul_f32_e32 v41, v36, v29
	s_delay_alu instid0(VALU_DEP_3) | instskip(NEXT) | instid1(VALU_DEP_2)
	v_rcp_f32_e32 v40, v35
	v_div_fmas_f32 v30, v30, v39, v34
	s_mov_b32 vcc_lo, s0
	s_delay_alu instid0(VALU_DEP_2) | instskip(NEXT) | instid1(VALU_DEP_1)
	v_fma_f32 v13, -v24, v41, v36
	v_fmac_f32_e32 v41, v13, v29
	s_waitcnt_depctr 0xfff
	v_fma_f32 v28, -v35, v40, 1.0
	v_fma_f32 v24, -v24, v41, v36
	s_delay_alu instid0(VALU_DEP_2) | instskip(SKIP_1) | instid1(VALU_DEP_1)
	v_fmac_f32_e32 v40, v28, v40
	v_div_scale_f32 v27, null, v25, v25, v15
	v_rcp_f32_e32 v8, v27
	s_waitcnt_depctr 0xfff
	v_fma_f32 v38, -v27, v8, 1.0
	s_delay_alu instid0(VALU_DEP_1) | instskip(SKIP_1) | instid1(VALU_DEP_1)
	v_fmac_f32_e32 v8, v38, v8
	v_div_scale_f32 v38, s3, v15, v25, v15
	v_mul_f32_e32 v16, v38, v8
	s_delay_alu instid0(VALU_DEP_1) | instskip(NEXT) | instid1(VALU_DEP_1)
	v_fma_f32 v13, -v27, v16, v38
	v_fmac_f32_e32 v16, v13, v8
	v_div_fmas_f32 v13, v24, v29, v41
	s_mov_b32 vcc_lo, s3
	s_delay_alu instid0(VALU_DEP_2) | instskip(NEXT) | instid1(VALU_DEP_2)
	v_fma_f32 v14, -v27, v16, v38
	v_div_fixup_f32 v13, v13, v32, v26
	s_delay_alu instid0(VALU_DEP_2) | instskip(SKIP_1) | instid1(VALU_DEP_3)
	v_div_fmas_f32 v8, v14, v8, v16
	v_div_fixup_f32 v14, v19, v3, v23
	v_add_f32_e32 v5, v5, v13
	v_div_fixup_f32 v13, v30, v3, v21
	s_delay_alu instid0(VALU_DEP_4) | instskip(NEXT) | instid1(VALU_DEP_4)
	v_div_fixup_f32 v8, v8, v25, v15
	v_add_f32_e32 v16, v17, v14
	v_div_scale_f32 v28, s1, v7, v3, v7
	s_delay_alu instid0(VALU_DEP_1) | instskip(NEXT) | instid1(VALU_DEP_3)
	s_mov_b32 vcc_lo, s1
	v_dual_add_f32 v5, v8, v5 :: v_dual_mov_b32 v8, v3
	s_delay_alu instid0(VALU_DEP_2) | instskip(SKIP_2) | instid1(VALU_DEP_3)
	v_mul_f32_e32 v31, v28, v40
	v_div_fixup_f32 v15, v22, v3, v18
	v_add_f32_e32 v17, v13, v6
	v_fma_f32 v24, -v35, v31, v28
	s_delay_alu instid0(VALU_DEP_3) | instskip(NEXT) | instid1(VALU_DEP_2)
	v_add_f32_e32 v11, v11, v15
	v_fmac_f32_e32 v31, v24, v40
	s_delay_alu instid0(VALU_DEP_1) | instskip(NEXT) | instid1(VALU_DEP_1)
	v_fma_f32 v12, -v35, v31, v28
	v_div_fmas_f32 v12, v12, v40, v31
	v_cmp_lt_f32_e32 vcc_lo, v10, v4
	s_delay_alu instid0(VALU_DEP_2) | instskip(SKIP_2) | instid1(VALU_DEP_3)
	v_div_fixup_f32 v7, v12, v3, v7
	v_mov_b32_e32 v12, v16
	v_dual_cndmask_b32 v10, v10, v4 :: v_dual_mov_b32 v13, v17
	v_add_f32_e32 v14, v7, v5
.LBB34_82:
	s_or_b32 exec_lo, exec_lo, s6
	v_cmp_gt_u32_e32 vcc_lo, 6, v2
	v_add_nc_u32_e32 v20, 2, v2
	s_mov_b32 s6, exec_lo
	s_waitcnt lgkmcnt(4)
	v_cndmask_b32_e64 v4, 0, 1, vcc_lo
	s_delay_alu instid0(VALU_DEP_1) | instskip(SKIP_1) | instid1(VALU_DEP_1)
	v_lshlrev_b32_e32 v4, 1, v4
	s_waitcnt lgkmcnt(0)
	v_add_lshl_u32 v5, v4, v1, 2
	ds_bpermute_b32 v7, v5, v3
	ds_bpermute_b32 v18, v5, v9
	;; [unrolled: 1-line block ×7, first 2 shown]
	v_cmpx_gt_u32_e64 s4, v20
	s_cbranch_execz .LBB34_84
; %bb.83:
	s_waitcnt lgkmcnt(5)
	v_cmp_gt_f32_e32 vcc_lo, v9, v18
	s_waitcnt lgkmcnt(3)
	v_sub_f32_e32 v16, v19, v11
	s_waitcnt lgkmcnt(0)
	v_dual_sub_f32 v20, v8, v7 :: v_dual_add_f32 v5, v14, v5
	v_cndmask_b32_e32 v9, v9, v18, vcc_lo
	s_delay_alu instid0(VALU_DEP_3) | instskip(SKIP_3) | instid1(VALU_DEP_4)
	v_dual_add_f32 v3, v8, v7 :: v_dual_mul_f32 v28, 0x40400000, v16
	v_mul_f32_e32 v24, v8, v8
	v_mul_f32_e32 v19, v16, v16
	v_mul_f32_e32 v18, v16, v7
	v_mul_f32_e32 v25, v3, v3
	v_add_f32_e32 v17, v12, v15
	v_fma_f32 v31, -v8, v7, v24
	s_delay_alu instid0(VALU_DEP_4) | instskip(NEXT) | instid1(VALU_DEP_4)
	v_div_scale_f32 v22, null, v3, v3, v18
	v_mul_f32_e32 v32, v3, v25
	s_delay_alu instid0(VALU_DEP_3) | instskip(SKIP_1) | instid1(VALU_DEP_4)
	v_fmac_f32_e32 v31, v7, v7
	v_mul_f32_e32 v23, v8, v19
	v_rcp_f32_e32 v27, v22
	v_div_scale_f32 v35, vcc_lo, v18, v3, v18
	s_delay_alu instid0(VALU_DEP_2) | instskip(NEXT) | instid1(VALU_DEP_1)
	v_mul_f32_e32 v23, v23, v7
	v_div_scale_f32 v30, null, v3, v3, v23
	s_waitcnt_depctr 0xfff
	v_fma_f32 v33, -v22, v27, 1.0
	v_rcp_f32_e32 v34, v30
	s_delay_alu instid0(VALU_DEP_1) | instskip(SKIP_2) | instid1(VALU_DEP_1)
	v_fmac_f32_e32 v27, v33, v27
	s_waitcnt_depctr 0xfff
	v_fma_f32 v33, -v30, v34, 1.0
	v_fmac_f32_e32 v34, v33, v34
	v_mul_f32_e32 v26, v16, v19
	v_mul_f32_e32 v19, 0x40c00000, v19
	s_delay_alu instid0(VALU_DEP_2) | instskip(SKIP_2) | instid1(VALU_DEP_2)
	v_mul_f32_e32 v29, v8, v26
	v_mul_f32_e32 v26, v16, v26
	v_mul_f32_e32 v16, 4.0, v16
	v_mul_f32_e32 v26, v8, v26
	s_delay_alu instid0(VALU_DEP_1) | instskip(SKIP_1) | instid1(VALU_DEP_1)
	v_mul_f32_e32 v26, v26, v7
	v_mul_f32_e32 v29, v29, v7
	v_dual_mul_f32 v20, v20, v29 :: v_dual_mul_f32 v29, v35, v27
	v_div_scale_f32 v36, s0, v23, v3, v23
	s_delay_alu instid0(VALU_DEP_2) | instskip(NEXT) | instid1(VALU_DEP_1)
	v_fma_f32 v38, -v22, v29, v35
	v_dual_fmac_f32 v29, v38, v27 :: v_dual_mul_f32 v38, v36, v34
	s_delay_alu instid0(VALU_DEP_1) | instskip(NEXT) | instid1(VALU_DEP_2)
	v_fma_f32 v22, -v22, v29, v35
	v_fma_f32 v35, -v30, v38, v36
	v_mul_f32_e32 v21, v12, v7
	s_delay_alu instid0(VALU_DEP_3) | instskip(NEXT) | instid1(VALU_DEP_3)
	v_div_fmas_f32 v22, v22, v27, v29
	v_fmac_f32_e32 v38, v35, v34
	s_delay_alu instid0(VALU_DEP_3)
	v_fma_f32 v21, v8, v15, -v21
	v_mul_f32_e32 v27, v7, v7
	v_mul_f32_e32 v15, v24, v15
	;; [unrolled: 1-line block ×3, first 2 shown]
	s_mov_b32 vcc_lo, s0
	v_mul_f32_e32 v21, v28, v21
	v_div_scale_f32 v28, null, v25, v25, v20
	s_delay_alu instid0(VALU_DEP_3) | instskip(SKIP_1) | instid1(VALU_DEP_4)
	v_fma_f32 v7, v8, v6, -v7
	v_add_f32_e32 v6, v13, v6
	v_div_scale_f32 v33, null, v3, v3, v21
	s_delay_alu instid0(VALU_DEP_4) | instskip(SKIP_2) | instid1(VALU_DEP_3)
	v_rcp_f32_e32 v37, v28
	v_fmac_f32_e32 v15, v12, v27
	v_div_scale_f32 v12, s1, v20, v25, v20
	v_rcp_f32_e32 v39, v33
	v_mul_f32_e32 v7, v16, v7
	s_delay_alu instid0(VALU_DEP_3) | instskip(SKIP_1) | instid1(TRANS32_DEP_2)
	v_mul_f32_e32 v15, v19, v15
	v_fma_f32 v19, -v30, v38, v36
	v_fma_f32 v40, -v28, v37, 1.0
	s_delay_alu instid0(VALU_DEP_2) | instskip(SKIP_3) | instid1(VALU_DEP_1)
	v_div_fmas_f32 v19, v19, v34, v38
	s_mov_b32 vcc_lo, s1
	s_waitcnt_depctr 0xfff
	v_fma_f32 v27, -v33, v39, 1.0
	v_fmac_f32_e32 v39, v27, v39
	v_fmac_f32_e32 v37, v40, v37
	s_delay_alu instid0(VALU_DEP_1) | instskip(NEXT) | instid1(VALU_DEP_1)
	v_mul_f32_e32 v30, v12, v37
	v_fma_f32 v16, -v28, v30, v12
	s_delay_alu instid0(VALU_DEP_1) | instskip(SKIP_2) | instid1(VALU_DEP_3)
	v_fmac_f32_e32 v30, v16, v37
	v_mul_f32_e32 v26, v31, v26
	v_div_scale_f32 v31, s2, v21, v3, v21
	v_fma_f32 v12, -v28, v30, v12
	s_delay_alu instid0(VALU_DEP_3) | instskip(NEXT) | instid1(VALU_DEP_3)
	v_div_scale_f32 v24, null, v32, v32, v26
	v_mul_f32_e32 v34, v31, v39
	v_div_scale_f32 v36, s0, v26, v32, v26
	s_delay_alu instid0(VALU_DEP_3) | instskip(SKIP_1) | instid1(VALU_DEP_3)
	v_rcp_f32_e32 v29, v24
	v_div_fmas_f32 v12, v12, v37, v30
	v_fma_f32 v16, -v33, v34, v31
	s_mov_b32 vcc_lo, s2
	s_delay_alu instid0(VALU_DEP_2) | instskip(SKIP_3) | instid1(VALU_DEP_2)
	v_div_fixup_f32 v12, v12, v25, v20
	s_waitcnt_depctr 0xfff
	v_fma_f32 v35, -v24, v29, 1.0
	v_add_f32_e32 v6, v6, v12
	v_dual_fmac_f32 v34, v16, v39 :: v_dual_fmac_f32 v29, v35, v29
	v_div_scale_f32 v35, null, v3, v3, v7
	s_delay_alu instid0(VALU_DEP_2) | instskip(NEXT) | instid1(VALU_DEP_3)
	v_fma_f32 v30, -v33, v34, v31
	v_mul_f32_e32 v41, v36, v29
	s_delay_alu instid0(VALU_DEP_3) | instskip(NEXT) | instid1(VALU_DEP_2)
	v_rcp_f32_e32 v40, v35
	v_div_fmas_f32 v30, v30, v39, v34
	s_mov_b32 vcc_lo, s0
	s_delay_alu instid0(VALU_DEP_2) | instskip(NEXT) | instid1(VALU_DEP_1)
	v_fma_f32 v13, -v24, v41, v36
	v_fmac_f32_e32 v41, v13, v29
	s_waitcnt_depctr 0xfff
	v_fma_f32 v28, -v35, v40, 1.0
	v_fma_f32 v24, -v24, v41, v36
	s_delay_alu instid0(VALU_DEP_2) | instskip(SKIP_1) | instid1(VALU_DEP_1)
	v_fmac_f32_e32 v40, v28, v40
	v_div_scale_f32 v27, null, v25, v25, v15
	v_rcp_f32_e32 v8, v27
	s_waitcnt_depctr 0xfff
	v_fma_f32 v38, -v27, v8, 1.0
	s_delay_alu instid0(VALU_DEP_1) | instskip(SKIP_1) | instid1(VALU_DEP_1)
	v_fmac_f32_e32 v8, v38, v8
	v_div_scale_f32 v38, s3, v15, v25, v15
	v_mul_f32_e32 v16, v38, v8
	s_delay_alu instid0(VALU_DEP_1) | instskip(NEXT) | instid1(VALU_DEP_1)
	v_fma_f32 v13, -v27, v16, v38
	v_fmac_f32_e32 v16, v13, v8
	v_div_fmas_f32 v13, v24, v29, v41
	s_mov_b32 vcc_lo, s3
	s_delay_alu instid0(VALU_DEP_2) | instskip(NEXT) | instid1(VALU_DEP_2)
	v_fma_f32 v14, -v27, v16, v38
	v_div_fixup_f32 v13, v13, v32, v26
	s_delay_alu instid0(VALU_DEP_2) | instskip(SKIP_1) | instid1(VALU_DEP_3)
	v_div_fmas_f32 v8, v14, v8, v16
	v_div_fixup_f32 v14, v19, v3, v23
	v_add_f32_e32 v5, v5, v13
	v_div_fixup_f32 v13, v30, v3, v21
	s_delay_alu instid0(VALU_DEP_4) | instskip(NEXT) | instid1(VALU_DEP_4)
	v_div_fixup_f32 v8, v8, v25, v15
	v_add_f32_e32 v16, v17, v14
	v_div_scale_f32 v28, s1, v7, v3, v7
	s_delay_alu instid0(VALU_DEP_1) | instskip(NEXT) | instid1(VALU_DEP_3)
	s_mov_b32 vcc_lo, s1
	v_dual_add_f32 v5, v8, v5 :: v_dual_mov_b32 v8, v3
	s_delay_alu instid0(VALU_DEP_2) | instskip(SKIP_2) | instid1(VALU_DEP_3)
	v_mul_f32_e32 v31, v28, v40
	v_div_fixup_f32 v15, v22, v3, v18
	v_add_f32_e32 v17, v13, v6
	v_fma_f32 v24, -v35, v31, v28
	s_delay_alu instid0(VALU_DEP_3) | instskip(NEXT) | instid1(VALU_DEP_2)
	v_add_f32_e32 v11, v11, v15
	v_fmac_f32_e32 v31, v24, v40
	s_delay_alu instid0(VALU_DEP_1) | instskip(NEXT) | instid1(VALU_DEP_1)
	v_fma_f32 v12, -v35, v31, v28
	v_div_fmas_f32 v12, v12, v40, v31
	v_cmp_lt_f32_e32 vcc_lo, v10, v4
	s_delay_alu instid0(VALU_DEP_2) | instskip(SKIP_2) | instid1(VALU_DEP_3)
	v_div_fixup_f32 v7, v12, v3, v7
	v_mov_b32_e32 v12, v16
	v_dual_cndmask_b32 v10, v10, v4 :: v_dual_mov_b32 v13, v17
	v_add_f32_e32 v14, v7, v5
.LBB34_84:
	s_or_b32 exec_lo, exec_lo, s6
	v_cmp_gt_u32_e32 vcc_lo, 4, v2
	v_add_nc_u32_e32 v2, 4, v2
	s_mov_b32 s6, exec_lo
	s_waitcnt lgkmcnt(4)
	v_cndmask_b32_e64 v4, 0, 1, vcc_lo
	s_delay_alu instid0(VALU_DEP_1) | instskip(SKIP_1) | instid1(VALU_DEP_1)
	v_lshlrev_b32_e32 v4, 2, v4
	s_waitcnt lgkmcnt(0)
	v_add_lshl_u32 v5, v4, v1, 2
	ds_bpermute_b32 v6, v5, v3
	ds_bpermute_b32 v7, v5, v9
	ds_bpermute_b32 v1, v5, v10
	ds_bpermute_b32 v15, v5, v11
	ds_bpermute_b32 v4, v5, v16
	ds_bpermute_b32 v3, v5, v17
	ds_bpermute_b32 v5, v5, v14
	v_cmpx_gt_u32_e64 s4, v2
	s_cbranch_execz .LBB34_86
; %bb.85:
	s_waitcnt lgkmcnt(3)
	v_dual_sub_f32 v2, v15, v11 :: v_dual_add_f32 v15, v8, v6
	v_cmp_gt_f32_e32 vcc_lo, v9, v7
	v_mul_f32_e32 v20, v8, v8
	v_sub_f32_e32 v16, v8, v6
	s_delay_alu instid0(VALU_DEP_4)
	v_dual_mul_f32 v18, v2, v2 :: v_dual_mul_f32 v21, v15, v15
	v_cndmask_b32_e32 v9, v9, v7, vcc_lo
	v_mul_f32_e32 v7, v2, v6
	v_mul_f32_e32 v17, v12, v6
	v_fma_f32 v27, -v8, v6, v20
	v_mul_f32_e32 v28, v15, v21
	s_waitcnt lgkmcnt(0)
	v_add_f32_e32 v5, v14, v5
	v_div_scale_f32 v19, null, v15, v15, v7
	v_div_scale_f32 v31, vcc_lo, v7, v15, v7
	v_fma_f32 v17, v8, v4, -v17
	s_delay_alu instid0(VALU_DEP_3) | instskip(SKIP_4) | instid1(VALU_DEP_1)
	v_rcp_f32_e32 v24, v19
	v_dual_fmac_f32 v27, v6, v6 :: v_dual_mul_f32 v20, v20, v4
	v_add_f32_e32 v4, v12, v4
	s_waitcnt_depctr 0xfff
	v_fma_f32 v30, -v19, v24, 1.0
	v_fmac_f32_e32 v24, v30, v24
	v_mul_f32_e32 v23, v2, v18
	s_delay_alu instid0(VALU_DEP_1) | instskip(NEXT) | instid1(VALU_DEP_1)
	v_dual_mul_f32 v25, 0x40400000, v2 :: v_dual_mul_f32 v26, v8, v23
	v_dual_mul_f32 v22, v8, v18 :: v_dual_mul_f32 v17, v25, v17
	s_delay_alu instid0(VALU_DEP_2) | instskip(NEXT) | instid1(VALU_DEP_2)
	v_mul_f32_e32 v26, v26, v6
	v_div_scale_f32 v30, null, v15, v15, v17
	s_delay_alu instid0(VALU_DEP_2) | instskip(SKIP_3) | instid1(VALU_DEP_4)
	v_mul_f32_e32 v16, v16, v26
	v_dual_mul_f32 v26, v31, v24 :: v_dual_mul_f32 v23, v2, v23
	v_mul_f32_e32 v22, v22, v6
	v_mul_f32_e32 v2, 4.0, v2
	v_div_scale_f32 v25, null, v21, v21, v16
	s_delay_alu instid0(VALU_DEP_4) | instskip(NEXT) | instid1(VALU_DEP_4)
	v_mul_f32_e32 v23, v8, v23
	v_div_scale_f32 v29, null, v15, v15, v22
	v_fma_f32 v35, -v19, v26, v31
	s_delay_alu instid0(VALU_DEP_4) | instskip(NEXT) | instid1(VALU_DEP_3)
	v_rcp_f32_e32 v34, v25
	v_mul_f32_e32 v23, v23, v6
	s_delay_alu instid0(VALU_DEP_3) | instskip(SKIP_2) | instid1(VALU_DEP_3)
	v_rcp_f32_e32 v32, v29
	v_div_scale_f32 v36, s0, v22, v15, v22
	v_fmac_f32_e32 v26, v35, v24
	v_mul_f32_e32 v23, v27, v23
	s_delay_alu instid0(VALU_DEP_2)
	v_fma_f32 v19, -v19, v26, v31
	v_mul_f32_e32 v31, v6, v6
	s_waitcnt_depctr 0xfff
	v_fma_f32 v33, -v29, v32, 1.0
	v_fma_f32 v37, -v25, v34, 1.0
	v_mul_f32_e32 v6, v13, v6
	v_div_fmas_f32 v19, v19, v24, v26
	s_mov_b32 vcc_lo, s0
	v_fmac_f32_e32 v32, v33, v32
	v_rcp_f32_e32 v33, v30
	v_fma_f32 v6, v8, v3, -v6
	v_div_scale_f32 v24, null, v28, v28, v23
	v_fmac_f32_e32 v20, v12, v31
	v_mul_f32_e32 v35, v36, v32
	v_add_f32_e32 v3, v13, v3
	s_delay_alu instid0(VALU_DEP_4) | instskip(SKIP_2) | instid1(TRANS32_DEP_2)
	v_rcp_f32_e32 v31, v24
	v_mul_f32_e32 v2, v2, v6
	v_div_fixup_f32 v7, v19, v15, v7
	v_fma_f32 v27, -v30, v33, 1.0
	v_mul_f32_e32 v18, 0x40c00000, v18
	v_fma_f32 v26, -v29, v35, v36
	v_fmac_f32_e32 v34, v37, v34
	v_div_scale_f32 v39, null, v15, v15, v2
	v_fmac_f32_e32 v33, v27, v33
	s_delay_alu instid0(VALU_DEP_4) | instskip(SKIP_3) | instid1(VALU_DEP_4)
	v_fmac_f32_e32 v35, v26, v32
	v_fma_f32 v37, -v24, v31, 1.0
	v_mul_f32_e32 v18, v18, v20
	v_div_scale_f32 v19, s1, v16, v21, v16
	v_fma_f32 v8, -v29, v35, v36
	s_delay_alu instid0(VALU_DEP_4) | instskip(NEXT) | instid1(VALU_DEP_4)
	v_fmac_f32_e32 v31, v37, v31
	v_div_scale_f32 v26, null, v21, v21, v18
	v_div_scale_f32 v27, s2, v17, v15, v17
	s_delay_alu instid0(VALU_DEP_4) | instskip(NEXT) | instid1(VALU_DEP_3)
	v_div_fmas_f32 v8, v8, v32, v35
	v_rcp_f32_e32 v38, v26
	v_div_scale_f32 v6, s3, v23, v28, v23
	s_mov_b32 vcc_lo, s1
	v_div_scale_f32 v41, s4, v18, v21, v18
	s_delay_alu instid0(VALU_DEP_2) | instskip(SKIP_4) | instid1(VALU_DEP_1)
	v_mul_f32_e32 v40, v6, v31
	v_div_fixup_f32 v8, v8, v15, v22
	v_add_f32_e32 v11, v11, v7
	s_waitcnt_depctr 0xfff
	v_fma_f32 v37, -v26, v38, 1.0
	v_fmac_f32_e32 v38, v37, v38
	v_rcp_f32_e32 v37, v39
	v_mul_f32_e32 v36, v27, v33
	s_waitcnt_depctr 0xfff
	v_fma_f32 v32, -v39, v37, 1.0
	s_delay_alu instid0(VALU_DEP_1) | instskip(NEXT) | instid1(VALU_DEP_1)
	v_dual_mul_f32 v20, v19, v34 :: v_dual_fmac_f32 v37, v32, v37
	v_fma_f32 v29, -v25, v20, v19
	s_delay_alu instid0(VALU_DEP_1) | instskip(SKIP_1) | instid1(VALU_DEP_2)
	v_fmac_f32_e32 v20, v29, v34
	v_fma_f32 v29, -v30, v36, v27
	v_fma_f32 v19, -v25, v20, v19
	s_delay_alu instid0(VALU_DEP_2) | instskip(SKIP_2) | instid1(VALU_DEP_4)
	v_fmac_f32_e32 v36, v29, v33
	v_fma_f32 v25, -v24, v40, v6
	v_mul_f32_e32 v29, v41, v38
	v_div_fmas_f32 v19, v19, v34, v20
	s_delay_alu instid0(VALU_DEP_4)
	v_fma_f32 v20, -v30, v36, v27
	s_mov_b32 vcc_lo, s2
	v_fmac_f32_e32 v40, v25, v31
	v_fma_f32 v25, -v26, v29, v41
	v_div_fixup_f32 v13, v19, v21, v16
	v_div_fmas_f32 v20, v20, v33, v36
	s_mov_b32 vcc_lo, s3
	v_fma_f32 v6, -v24, v40, v6
	v_fmac_f32_e32 v29, v25, v38
	v_add_f32_e32 v3, v3, v13
	v_div_scale_f32 v27, s0, v2, v15, v2
	v_div_fixup_f32 v13, v20, v15, v17
	v_div_fmas_f32 v6, v6, v31, v40
	v_fma_f32 v12, -v26, v29, v41
	s_delay_alu instid0(VALU_DEP_4)
	v_mul_f32_e32 v24, v27, v37
	s_mov_b32 vcc_lo, s4
	v_add_f32_e32 v13, v13, v3
	v_div_fixup_f32 v6, v6, v28, v23
	v_div_fmas_f32 v12, v12, v38, v29
	v_fma_f32 v25, -v39, v24, v27
	s_mov_b32 vcc_lo, s0
	s_delay_alu instid0(VALU_DEP_3) | instskip(NEXT) | instid1(VALU_DEP_3)
	v_add_f32_e32 v5, v5, v6
	v_div_fixup_f32 v6, v12, v21, v18
	s_delay_alu instid0(VALU_DEP_3) | instskip(NEXT) | instid1(VALU_DEP_2)
	v_fmac_f32_e32 v24, v25, v37
	v_add_f32_e32 v5, v6, v5
	s_delay_alu instid0(VALU_DEP_2) | instskip(NEXT) | instid1(VALU_DEP_1)
	v_fma_f32 v14, -v39, v24, v27
	v_div_fmas_f32 v12, v14, v37, v24
	v_cmp_lt_f32_e32 vcc_lo, v10, v1
	s_delay_alu instid0(VALU_DEP_2) | instskip(SKIP_3) | instid1(VALU_DEP_4)
	v_div_fixup_f32 v2, v12, v15, v2
	v_cndmask_b32_e32 v10, v10, v1, vcc_lo
	v_add_f32_e32 v12, v4, v8
	v_mov_b32_e32 v8, v15
	v_add_f32_e32 v14, v2, v5
.LBB34_86:
	s_or_b32 exec_lo, exec_lo, s6
.LBB34_87:
	s_delay_alu instid0(SALU_CYCLE_1)
	s_or_b32 exec_lo, exec_lo, s5
.LBB34_88:
                                        ; implicit-def: $vgpr7
                                        ; implicit-def: $vgpr4
	s_delay_alu instid0(SALU_CYCLE_1)
	s_mov_b32 s0, exec_lo
	v_cmpx_eq_u32_e32 0, v0
	s_xor_b32 s5, exec_lo, s0
	s_cbranch_execz .LBB34_92
; %bb.89:
	s_waitcnt lgkmcnt(5)
	v_dual_mov_b32 v7, s18 :: v_dual_mov_b32 v6, s17
	s_waitcnt lgkmcnt(0)
	v_dual_mov_b32 v5, s16 :: v_dual_mov_b32 v4, s15
	v_dual_mov_b32 v3, s14 :: v_dual_mov_b32 v2, s13
	v_mov_b32_e32 v1, s12
	s_cmp_eq_u64 s[8:9], 0
	s_cbranch_scc1 .LBB34_91
; %bb.90:
	v_dual_subrev_f32 v3, s15, v11 :: v_dual_mul_f32 v6, s16, v8
	v_cmp_gt_f32_e32 vcc_lo, s13, v9
	v_sub_f32_e32 v5, s12, v8
	v_mul_f32_e64 v11, s12, s12
	s_delay_alu instid0(VALU_DEP_4) | instskip(SKIP_4) | instid1(VALU_DEP_4)
	v_mul_f32_e32 v20, 0x40400000, v3
	v_dual_mul_f32 v7, v3, v3 :: v_dual_cndmask_b32 v2, s13, v9
	v_add_f32_e32 v1, s12, v8
	v_fma_f32 v6, s12, v12, -v6
	v_fma_f32 v22, -s12, v8, v11
	v_mul_f32_e32 v16, s12, v7
	s_delay_alu instid0(VALU_DEP_4) | instskip(SKIP_1) | instid1(VALU_DEP_3)
	v_dual_mul_f32 v4, v3, v8 :: v_dual_mul_f32 v19, v1, v1
	v_mul_f32_e32 v17, v3, v7
	v_dual_mul_f32 v7, 0x40c00000, v7 :: v_dual_mul_f32 v16, v16, v8
	s_delay_alu instid0(VALU_DEP_3) | instskip(SKIP_1) | instid1(VALU_DEP_3)
	v_div_scale_f32 v9, null, v1, v1, v4
	v_div_scale_f32 v25, vcc_lo, v4, v1, v4
	v_div_scale_f32 v23, null, v1, v1, v16
	s_delay_alu instid0(VALU_DEP_3) | instskip(SKIP_1) | instid1(VALU_DEP_2)
	v_rcp_f32_e32 v18, v9
	v_div_scale_f32 v30, s0, v16, v1, v16
	v_rcp_f32_e32 v26, v23
	v_mul_f32_e32 v6, v20, v6
	v_fmac_f32_e32 v22, v8, v8
	v_add_f32_e32 v14, s18, v14
	s_waitcnt_depctr 0xfff
	v_fma_f32 v24, -v9, v18, 1.0
	v_mul_f32_e32 v21, s12, v17
	v_fma_f32 v27, -v23, v26, 1.0
	s_delay_alu instid0(VALU_DEP_3) | instskip(NEXT) | instid1(VALU_DEP_3)
	v_fmac_f32_e32 v18, v24, v18
	v_mul_f32_e32 v21, v8, v21
	s_delay_alu instid0(VALU_DEP_3) | instskip(SKIP_1) | instid1(VALU_DEP_4)
	v_dual_mul_f32 v15, v8, v8 :: v_dual_fmac_f32 v26, v27, v26
	v_div_scale_f32 v27, null, v1, v1, v6
	v_mul_f32_e32 v24, v25, v18
	s_delay_alu instid0(VALU_DEP_4) | instskip(NEXT) | instid1(VALU_DEP_4)
	v_mul_f32_e32 v5, v5, v21
	v_mul_f32_e32 v15, s16, v15
	;; [unrolled: 1-line block ×3, first 2 shown]
	s_delay_alu instid0(VALU_DEP_4) | instskip(NEXT) | instid1(VALU_DEP_4)
	v_fma_f32 v29, -v9, v24, v25
	v_div_scale_f32 v20, null, v19, v19, v5
	v_mul_f32_e32 v17, v3, v17
	s_delay_alu instid0(VALU_DEP_3) | instskip(NEXT) | instid1(VALU_DEP_3)
	v_dual_fmac_f32 v15, v11, v12 :: v_dual_fmac_f32 v24, v29, v18
	v_rcp_f32_e32 v28, v20
	s_delay_alu instid0(VALU_DEP_1) | instskip(NEXT) | instid1(VALU_DEP_2)
	v_dual_add_f32 v12, s16, v12 :: v_dual_mul_f32 v7, v7, v15
	v_fma_f32 v9, -v9, v24, v25
	v_rcp_f32_e32 v25, v27
	s_delay_alu instid0(VALU_DEP_2)
	v_div_scale_f32 v36, s4, v7, v19, v7
	s_waitcnt_depctr 0xfff
	v_fma_f32 v31, -v20, v28, 1.0
	v_div_fmas_f32 v9, v9, v18, v24
	v_mul_f32_e32 v17, s12, v17
	s_mov_b32 vcc_lo, s0
	s_delay_alu instid0(VALU_DEP_3) | instskip(NEXT) | instid1(VALU_DEP_3)
	v_fmac_f32_e32 v28, v31, v28
	v_div_fixup_f32 v4, v9, v1, v4
	v_div_scale_f32 v9, s1, v5, v19, v5
	v_fma_f32 v11, -v27, v25, 1.0
	v_dual_mul_f32 v17, v8, v17 :: v_dual_mul_f32 v8, s17, v8
	s_delay_alu instid0(VALU_DEP_3) | instskip(SKIP_1) | instid1(VALU_DEP_4)
	v_mul_f32_e32 v15, v9, v28
	v_dual_mul_f32 v3, 4.0, v3 :: v_dual_add_f32 v4, s15, v4
	v_fmac_f32_e32 v25, v11, v25
	v_div_scale_f32 v11, null, v19, v19, v7
	v_fma_f32 v8, s12, v13, -v8
	v_add_f32_e32 v13, s17, v13
	s_delay_alu instid0(VALU_DEP_3) | instskip(SKIP_1) | instid1(VALU_DEP_1)
	v_rcp_f32_e32 v32, v11
	v_mul_f32_e32 v17, v22, v17
	v_div_scale_f32 v18, null, v21, v21, v17
	s_delay_alu instid0(VALU_DEP_1) | instskip(SKIP_2) | instid1(VALU_DEP_1)
	v_rcp_f32_e32 v24, v18
	s_waitcnt_depctr 0xfff
	v_fma_f32 v31, -v18, v24, 1.0
	v_dual_mul_f32 v29, v30, v26 :: v_dual_fmac_f32 v24, v31, v24
	s_delay_alu instid0(VALU_DEP_1) | instskip(SKIP_1) | instid1(VALU_DEP_2)
	v_fma_f32 v22, -v23, v29, v30
	v_fma_f32 v31, -v11, v32, 1.0
	v_fmac_f32_e32 v29, v22, v26
	v_div_scale_f32 v22, s2, v6, v1, v6
	s_delay_alu instid0(VALU_DEP_3) | instskip(NEXT) | instid1(VALU_DEP_3)
	v_fmac_f32_e32 v32, v31, v32
	v_fma_f32 v23, -v23, v29, v30
	v_fma_f32 v30, -v20, v15, v9
	s_delay_alu instid0(VALU_DEP_4) | instskip(NEXT) | instid1(VALU_DEP_3)
	v_mul_f32_e32 v33, v22, v25
	v_div_fmas_f32 v23, v23, v26, v29
	s_delay_alu instid0(VALU_DEP_3) | instskip(NEXT) | instid1(VALU_DEP_3)
	v_fmac_f32_e32 v15, v30, v28
	v_fma_f32 v30, -v27, v33, v22
	s_mov_b32 vcc_lo, s1
	v_mul_f32_e32 v26, v36, v32
	s_delay_alu instid0(VALU_DEP_3) | instskip(NEXT) | instid1(VALU_DEP_3)
	v_fma_f32 v9, -v20, v15, v9
	v_fmac_f32_e32 v33, v30, v25
	s_delay_alu instid0(VALU_DEP_2) | instskip(NEXT) | instid1(VALU_DEP_2)
	v_div_fmas_f32 v9, v9, v28, v15
	v_fma_f32 v15, -v27, v33, v22
	s_mov_b32 vcc_lo, s2
	s_delay_alu instid0(VALU_DEP_2) | instskip(NEXT) | instid1(VALU_DEP_2)
	v_div_fixup_f32 v5, v9, v19, v5
	v_div_fmas_f32 v15, v15, v25, v33
	s_delay_alu instid0(VALU_DEP_2) | instskip(NEXT) | instid1(VALU_DEP_2)
	v_add_f32_e32 v13, v13, v5
	v_div_fixup_f32 v6, v15, v1, v6
	v_mul_f32_e32 v3, v3, v8
	v_div_scale_f32 v8, s3, v17, v21, v17
	s_delay_alu instid0(VALU_DEP_1) | instskip(NEXT) | instid1(VALU_DEP_3)
	s_mov_b32 vcc_lo, s3
	v_add_f32_e32 v6, v6, v13
	s_delay_alu instid0(VALU_DEP_3) | instskip(NEXT) | instid1(VALU_DEP_3)
	v_div_scale_f32 v34, null, v1, v1, v3
	v_mul_f32_e32 v35, v8, v24
	v_div_scale_f32 v22, s0, v3, v1, v3
	s_delay_alu instid0(VALU_DEP_3) | instskip(NEXT) | instid1(VALU_DEP_2)
	v_rcp_f32_e32 v31, v34
	v_fma_f32 v20, -v18, v35, v8
	s_delay_alu instid0(VALU_DEP_1) | instskip(SKIP_4) | instid1(VALU_DEP_2)
	v_fmac_f32_e32 v35, v20, v24
	v_fma_f32 v20, -v11, v26, v36
	s_waitcnt_depctr 0xfff
	v_fma_f32 v29, -v34, v31, 1.0
	v_fma_f32 v8, -v18, v35, v8
	v_dual_fmac_f32 v26, v20, v32 :: v_dual_fmac_f32 v31, v29, v31
	s_delay_alu instid0(VALU_DEP_2) | instskip(NEXT) | instid1(VALU_DEP_2)
	v_div_fmas_f32 v8, v8, v24, v35
	v_fma_f32 v11, -v11, v26, v36
	s_mov_b32 vcc_lo, s4
	s_delay_alu instid0(VALU_DEP_3) | instskip(NEXT) | instid1(VALU_DEP_3)
	v_mul_f32_e32 v18, v22, v31
	v_div_fixup_f32 v8, v8, v21, v17
	s_delay_alu instid0(VALU_DEP_3) | instskip(SKIP_1) | instid1(VALU_DEP_3)
	v_div_fmas_f32 v11, v11, v32, v26
	s_mov_b32 vcc_lo, s0
	v_fma_f32 v20, -v34, v18, v22
	s_delay_alu instid0(VALU_DEP_3) | instskip(NEXT) | instid1(VALU_DEP_3)
	v_add_f32_e32 v8, v14, v8
	v_div_fixup_f32 v7, v11, v19, v7
	v_div_fixup_f32 v11, v23, v1, v16
	s_delay_alu instid0(VALU_DEP_2) | instskip(NEXT) | instid1(VALU_DEP_2)
	v_dual_fmac_f32 v18, v20, v31 :: v_dual_add_f32 v7, v7, v8
	v_add_f32_e32 v5, v12, v11
	s_delay_alu instid0(VALU_DEP_2) | instskip(NEXT) | instid1(VALU_DEP_1)
	v_fma_f32 v9, -v34, v18, v22
	v_div_fmas_f32 v9, v9, v31, v18
	v_cmp_lt_f32_e32 vcc_lo, s14, v10
	s_delay_alu instid0(VALU_DEP_2) | instskip(SKIP_1) | instid1(VALU_DEP_2)
	v_div_fixup_f32 v8, v9, v1, v3
	v_cndmask_b32_e32 v3, s14, v10, vcc_lo
	v_add_f32_e32 v7, v8, v7
.LBB34_91:
	s_or_b32 s19, s19, exec_lo
.LBB34_92:
	s_or_b32 exec_lo, exec_lo, s5
	s_branch .LBB34_101
.LBB34_93:
	s_cmp_eq_u32 s28, 1
	s_cbranch_scc0 .LBB34_100
; %bb.94:
	s_mov_b32 s25, 0
	s_waitcnt lgkmcnt(4)
	v_mbcnt_lo_u32_b32 v1, -1, 0
	s_lshr_b64 s[0:1], s[8:9], 8
	s_mov_b32 s21, s25
	s_lshl_b32 s24, s20, 8
	s_cmp_lg_u64 s[0:1], s[20:21]
	s_cbranch_scc0 .LBB34_103
; %bb.95:
	s_lshl_b64 s[0:1], s[24:25], 2
	v_lshlrev_b32_e32 v2, 2, v0
	s_add_u32 s0, s22, s0
	s_addc_u32 s1, s23, s1
	global_load_b32 v10, v2, s[0:1]
	v_mov_b32_e32 v2, 1.0
	s_delay_alu instid0(VALU_DEP_1) | instskip(SKIP_1) | instid1(VALU_DEP_1)
	v_mov_b32_dpp v7, v2 quad_perm:[1,0,3,2] row_mask:0xf bank_mask:0xf
	s_waitcnt lgkmcnt(1)
	v_add_f32_e32 v3, 1.0, v7
	v_fma_f32 v9, v7, v7, -v7
	s_delay_alu instid0(VALU_DEP_2) | instskip(SKIP_1) | instid1(VALU_DEP_2)
	v_dual_mov_b32 v2, 0 :: v_dual_mul_f32 v23, v3, v3
	v_mov_b32_dpp v8, v3 quad_perm:[2,3,0,1] row_mask:0xf bank_mask:0xf
	v_mov_b32_dpp v20, v2 quad_perm:[1,0,3,2] row_mask:0xf bank_mask:0xf
	s_delay_alu instid0(VALU_DEP_4) | instskip(NEXT) | instid1(VALU_DEP_4)
	v_add_f32_e32 v25, 1.0, v9
	v_mul_f32_e32 v27, v3, v23
	s_waitcnt lgkmcnt(0)
	v_add_f32_e32 v4, v3, v8
	v_add_f32_e32 v22, -1.0, v7
	v_fma_f32 v24, v7, 0, -v20
	v_mul_f32_e32 v26, v8, v8
	v_add_f32_e32 v21, 0, v20
	v_mov_b32_dpp v11, v4 row_ror:4 row_mask:0xf bank_mask:0xf
	v_mul_f32_e32 v29, v4, v4
	v_sub_f32_e32 v31, v8, v3
	v_fma_f32 v30, -v3, v8, v26
	s_delay_alu instid0(VALU_DEP_4) | instskip(NEXT) | instid1(VALU_DEP_1)
	v_dual_add_f32 v6, v4, v11 :: v_dual_sub_f32 v35, v11, v4
	v_mov_b32_dpp v13, v6 row_ror:8 row_mask:0xf bank_mask:0xf
	v_mul_f32_e32 v28, v11, v11
	v_mul_f32_e32 v32, v6, v6
	s_delay_alu instid0(VALU_DEP_3) | instskip(SKIP_1) | instid1(VALU_DEP_4)
	v_add_f32_e32 v5, v6, v13
	v_mul_f32_e32 v37, v13, v13
	v_fma_f32 v33, -v4, v11, v28
	v_mul_f32_e32 v14, v7, v7
	s_delay_alu instid0(VALU_DEP_4)
	v_dual_fmac_f32 v30, v3, v3 :: v_dual_mul_f32 v15, v5, v5
	ds_swizzle_b32 v12, v5 offset:swizzle(BROADCAST,32,15)
	v_mul_f32_e32 v34, v4, v29
	v_dual_fmac_f32 v33, v4, v4 :: v_dual_fmac_f32 v20, 0, v14
	v_fma_f32 v39, -v6, v13, v37
	v_mul_f32_e32 v40, v5, v15
	v_sub_f32_e32 v38, v13, v6
	s_delay_alu instid0(VALU_DEP_3) | instskip(SKIP_3) | instid1(VALU_DEP_1)
	v_fmac_f32_e32 v39, v6, v6
	s_waitcnt lgkmcnt(0)
	v_add_f32_e32 v9, v5, v12
	v_mul_f32_e32 v19, v12, v12
	v_fma_f32 v17, -v5, v12, v19
	s_delay_alu instid0(VALU_DEP_1) | instskip(SKIP_2) | instid1(VALU_DEP_1)
	v_dual_mul_f32 v36, v6, v32 :: v_dual_fmac_f32 v17, v5, v5
	s_waitcnt vmcnt(0)
	v_mov_b32_dpp v41, v10 quad_perm:[1,0,3,2] row_mask:0xf bank_mask:0xf
	v_sub_f32_e32 v42, v10, v41
	v_cmp_lt_f32_e32 vcc_lo, v10, v41
	v_sub_f32_e32 v18, v12, v5
	s_delay_alu instid0(VALU_DEP_3) | instskip(SKIP_2) | instid1(VALU_DEP_3)
	v_mul_f32_e32 v44, v42, v42
	v_cndmask_b32_e32 v43, v41, v10, vcc_lo
	v_cmp_gt_f32_e32 vcc_lo, v10, v41
	v_dual_mul_f32 v53, v44, v7 :: v_dual_mul_f32 v14, v9, v9
	v_mul_f32_e32 v47, 0x40400000, v42
	s_delay_alu instid0(VALU_DEP_4) | instskip(SKIP_1) | instid1(VALU_DEP_4)
	v_mov_b32_dpp v49, v43 quad_perm:[2,3,0,1] row_mask:0xf bank_mask:0xf
	v_dual_mul_f32 v48, 4.0, v42 :: v_dual_mul_f32 v51, v42, v44
	v_mul_f32_e32 v16, v9, v14
	s_delay_alu instid0(VALU_DEP_4) | instskip(NEXT) | instid1(VALU_DEP_4)
	v_dual_cndmask_b32 v10, v41, v10 :: v_dual_mul_f32 v47, v47, v24
	v_cmp_lt_f32_e64 s0, v43, v49
	s_delay_alu instid0(VALU_DEP_4) | instskip(SKIP_2) | instid1(VALU_DEP_4)
	v_mul_f32_e32 v24, v48, v24
	v_mul_f32_e32 v48, v42, v51
	v_dual_mul_f32 v51, v51, v7 :: v_dual_mul_f32 v44, 0x40c00000, v44
	v_cndmask_b32_e64 v43, v49, v43, s0
	v_div_scale_f32 v49, null, v3, v3, v53
	s_delay_alu instid0(VALU_DEP_4) | instskip(SKIP_1) | instid1(VALU_DEP_3)
	v_mul_f32_e32 v7, v48, v7
	v_div_scale_f32 v54, null, v3, v3, v47
	v_rcp_f32_e32 v60, v49
	v_div_scale_f32 v45, null, v3, v3, v42
	s_delay_alu instid0(VALU_DEP_3) | instskip(SKIP_2) | instid1(VALU_DEP_4)
	v_mul_f32_e32 v25, v25, v7
	v_mov_b32_dpp v50, v10 quad_perm:[2,3,0,1] row_mask:0xf bank_mask:0xf
	v_mul_f32_e32 v20, v20, v44
	v_rcp_f32_e32 v52, v45
	v_mov_b32_dpp v57, v43 row_ror:4 row_mask:0xf bank_mask:0xf
	v_div_scale_f32 v68, null, v27, v27, v25
	s_delay_alu instid0(TRANS32_DEP_2) | instskip(SKIP_3) | instid1(VALU_DEP_4)
	v_fma_f32 v65, -v49, v60, 1.0
	v_cmp_gt_f32_e64 s0, v10, v50
	v_div_scale_f32 v48, null, v23, v23, v20
	v_cmp_lt_f32_e64 s4, v43, v57
	v_fmac_f32_e32 v60, v65, v60
	v_rcp_f32_e32 v65, v68
	v_cndmask_b32_e64 v10, v50, v10, s0
	v_fma_f32 v59, -v45, v52, 1.0
	v_cndmask_b32_e64 v43, v57, v43, s4
	v_div_scale_f32 v46, vcc_lo, v42, v3, v42
	s_delay_alu instid0(VALU_DEP_4) | instskip(NEXT) | instid1(VALU_DEP_4)
	v_mov_b32_dpp v58, v10 row_ror:4 row_mask:0xf bank_mask:0xf
	v_fmac_f32_e32 v52, v59, v52
	v_rcp_f32_e32 v59, v48
	v_mov_b32_dpp v7, v43 row_ror:8 row_mask:0xf bank_mask:0xf
	s_delay_alu instid0(TRANS32_DEP_2)
	v_fma_f32 v73, -v68, v65, 1.0
	v_mul_f32_e32 v22, v22, v51
	v_rcp_f32_e32 v51, v54
	v_cmp_gt_f32_e64 s4, v10, v58
	v_cmp_lt_f32_e64 s6, v43, v7
	v_fmac_f32_e32 v65, v73, v65
	v_div_scale_f32 v57, null, v23, v23, v22
	s_delay_alu instid0(VALU_DEP_4) | instskip(NEXT) | instid1(VALU_DEP_4)
	v_cndmask_b32_e64 v10, v58, v10, s4
	v_cndmask_b32_e64 v43, v7, v43, s6
	v_div_scale_f32 v50, s0, v53, v3, v53
	s_delay_alu instid0(TRANS32_DEP_1) | instskip(NEXT) | instid1(VALU_DEP_4)
	v_fma_f32 v67, -v54, v51, 1.0
	v_mov_b32_dpp v63, v10 row_ror:8 row_mask:0xf bank_mask:0xf
	v_rcp_f32_e32 v66, v57
	v_div_scale_f32 v55, s1, v47, v3, v47
	s_delay_alu instid0(VALU_DEP_3) | instskip(SKIP_3) | instid1(VALU_DEP_3)
	v_fmac_f32_e32 v51, v67, v51
	v_div_scale_f32 v44, null, v3, v3, v24
	v_div_scale_f32 v56, s2, v24, v3, v24
	v_fma_f32 v67, -v48, v59, 1.0
	v_rcp_f32_e32 v62, v44
	v_cmp_gt_f32_e64 s6, v10, v63
	s_delay_alu instid0(TRANS32_DEP_2) | instskip(SKIP_2) | instid1(VALU_DEP_4)
	v_fma_f32 v71, -v57, v66, 1.0
	v_div_scale_f32 v58, s4, v22, v23, v22
	v_fmac_f32_e32 v59, v67, v59
	v_cndmask_b32_e64 v7, v63, v10, s6
	v_div_scale_f32 v61, s3, v20, v23, v20
	v_div_scale_f32 v69, s5, v25, v27, v25
	s_delay_alu instid0(TRANS32_DEP_1)
	v_fma_f32 v70, -v44, v62, 1.0
	ds_swizzle_b32 v10, v7 offset:swizzle(BROADCAST,32,15)
	v_mul_f32_e32 v72, v55, v51
	v_fmac_f32_e32 v62, v70, v62
	ds_swizzle_b32 v70, v43 offset:swizzle(BROADCAST,32,15)
	v_mul_f32_e32 v67, v56, v62
	s_delay_alu instid0(VALU_DEP_1) | instskip(NEXT) | instid1(VALU_DEP_1)
	v_fma_f32 v75, -v44, v67, v56
	v_dual_mul_f32 v64, v46, v52 :: v_dual_fmac_f32 v67, v75, v62
	s_delay_alu instid0(VALU_DEP_1) | instskip(NEXT) | instid1(VALU_DEP_2)
	v_fma_f32 v63, -v45, v64, v46
	v_fma_f32 v44, -v44, v67, v56
	s_delay_alu instid0(VALU_DEP_2) | instskip(SKIP_1) | instid1(VALU_DEP_2)
	v_fmac_f32_e32 v64, v63, v52
	v_mul_f32_e32 v63, v50, v60
	v_fma_f32 v45, -v45, v64, v46
	s_delay_alu instid0(VALU_DEP_2) | instskip(SKIP_2) | instid1(VALU_DEP_4)
	v_fma_f32 v46, -v49, v63, v50
	v_fmac_f32_e32 v66, v71, v66
	v_fma_f32 v71, -v54, v72, v55
	v_div_fmas_f32 v45, v45, v52, v64
	s_delay_alu instid0(VALU_DEP_4)
	v_fmac_f32_e32 v63, v46, v60
	s_mov_b32 vcc_lo, s0
	v_mul_f32_e32 v46, v58, v66
	v_fmac_f32_e32 v72, v71, v51
	v_div_fixup_f32 v42, v45, v3, v42
	v_fma_f32 v45, -v49, v63, v50
	s_delay_alu instid0(VALU_DEP_4) | instskip(NEXT) | instid1(VALU_DEP_4)
	v_fma_f32 v49, -v57, v46, v58
	v_fma_f32 v50, -v54, v72, v55
	s_delay_alu instid0(VALU_DEP_4) | instskip(NEXT) | instid1(VALU_DEP_4)
	v_add_f32_e32 v41, v42, v41
	v_div_fmas_f32 v45, v45, v60, v63
	v_mul_f32_e32 v54, v69, v65
	v_fmac_f32_e32 v46, v49, v66
	s_mov_b32 vcc_lo, s4
	s_delay_alu instid0(VALU_DEP_3) | instskip(NEXT) | instid1(VALU_DEP_3)
	v_div_fixup_f32 v42, v45, v3, v53
	v_fma_f32 v49, -v68, v54, v69
	s_delay_alu instid0(VALU_DEP_2) | instskip(SKIP_1) | instid1(VALU_DEP_3)
	v_add_f32_e32 v42, v21, v42
	v_mul_f32_e32 v74, v61, v59
	v_fmac_f32_e32 v54, v49, v65
	v_mov_b32_dpp v49, v41 quad_perm:[2,3,0,1] row_mask:0xf bank_mask:0xf
	s_delay_alu instid0(VALU_DEP_3) | instskip(NEXT) | instid1(VALU_DEP_1)
	v_fma_f32 v52, -v48, v74, v61
	v_dual_sub_f32 v41, v41, v49 :: v_dual_fmac_f32 v74, v52, v59
	s_delay_alu instid0(VALU_DEP_1) | instskip(NEXT) | instid1(VALU_DEP_2)
	v_mul_f32_e32 v53, 0x40400000, v41
	v_fma_f32 v45, -v48, v74, v61
	v_fma_f32 v48, -v57, v46, v58
	s_delay_alu instid0(VALU_DEP_1)
	v_div_fmas_f32 v46, v48, v66, v46
	v_fma_f32 v48, -v68, v54, v69
	s_mov_b32 vcc_lo, s1
	v_div_fmas_f32 v50, v50, v51, v72
	s_mov_b32 vcc_lo, s5
	v_div_fixup_f32 v22, v46, v23, v22
	v_div_fmas_f32 v46, v48, v65, v54
	v_mul_f32_e32 v51, v41, v41
	s_mov_b32 vcc_lo, s3
	v_mov_b32_dpp v48, v42 quad_perm:[2,3,0,1] row_mask:0xf bank_mask:0xf
	v_div_fmas_f32 v45, v45, v59, v74
	s_mov_b32 vcc_lo, s2
	v_div_fixup_f32 v25, v46, v27, v25
	v_div_fmas_f32 v44, v44, v62, v67
	v_mul_f32_e32 v27, v41, v51
	v_add_f32_e32 v55, v42, v48
	v_mul_f32_e32 v57, v3, v48
	v_mul_f32_e32 v48, v23, v48
	v_div_fixup_f32 v20, v45, v23, v20
	v_div_fixup_f32 v23, v44, v3, v24
	v_dual_mul_f32 v24, v41, v27 :: v_dual_mul_f32 v27, v27, v8
	v_div_fixup_f32 v47, v50, v3, v47
	v_dual_mul_f32 v56, v51, v8 :: v_dual_mul_f32 v51, 0x40c00000, v51
	s_delay_alu instid0(VALU_DEP_3) | instskip(SKIP_3) | instid1(VALU_DEP_4)
	v_dual_mul_f32 v24, v24, v8 :: v_dual_mul_f32 v27, v3, v27
	v_add_f32_e32 v22, v21, v22
	v_add_f32_e32 v21, v21, v25
	v_fma_f32 v44, v42, v8, -v57
	v_dual_fmac_f32 v48, v26, v42 :: v_dual_mul_f32 v27, v31, v27
	v_mul_f32_e32 v54, 4.0, v41
	s_delay_alu instid0(VALU_DEP_4) | instskip(SKIP_1) | instid1(VALU_DEP_4)
	v_add_f32_e32 v20, v20, v21
	v_mul_f32_e32 v24, v3, v24
	v_mul_f32_e32 v45, v51, v48
	v_div_scale_f32 v57, s3, v27, v29, v27
	v_add_f32_e32 v22, v47, v22
	v_mul_f32_e32 v52, v3, v41
	v_mul_f32_e32 v41, v3, v56
	v_add_f32_e32 v20, v23, v20
	v_mul_f32_e32 v24, v30, v24
	v_mov_b32_dpp v21, v22 quad_perm:[2,3,0,1] row_mask:0xf bank_mask:0xf
	v_div_scale_f32 v56, s2, v45, v29, v45
	v_div_scale_f32 v26, null, v4, v4, v41
	s_delay_alu instid0(VALU_DEP_3) | instskip(SKIP_1) | instid1(VALU_DEP_3)
	v_mul_f32_e32 v3, v3, v21
	v_div_scale_f32 v42, s0, v41, v4, v41
	v_rcp_f32_e32 v47, v26
	v_div_scale_f32 v60, s4, v24, v34, v24
	s_delay_alu instid0(VALU_DEP_3) | instskip(NEXT) | instid1(VALU_DEP_1)
	v_fma_f32 v3, v22, v8, -v3
	v_mul_f32_e32 v3, v54, v3
	v_div_scale_f32 v46, null, v4, v4, v52
	v_div_scale_f32 v50, vcc_lo, v52, v4, v52
	s_delay_alu instid0(VALU_DEP_3) | instskip(NEXT) | instid1(VALU_DEP_3)
	v_div_scale_f32 v64, s5, v3, v4, v3
	v_rcp_f32_e32 v25, v46
	v_mul_f32_e32 v44, v53, v44
	v_div_scale_f32 v63, null, v4, v4, v3
	v_div_scale_f32 v53, null, v29, v29, v45
	s_delay_alu instid0(VALU_DEP_3) | instskip(NEXT) | instid1(VALU_DEP_2)
	v_div_scale_f32 v31, null, v4, v4, v44
	v_rcp_f32_e32 v30, v53
	s_waitcnt_depctr 0xfff
	v_fma_f32 v23, -v46, v25, 1.0
	v_rcp_f32_e32 v58, v31
	s_delay_alu instid0(VALU_DEP_1) | instskip(SKIP_2) | instid1(VALU_DEP_3)
	v_fmac_f32_e32 v25, v23, v25
	v_div_scale_f32 v23, null, v29, v29, v27
	v_fma_f32 v62, -v53, v30, 1.0
	v_mul_f32_e32 v8, v50, v25
	s_delay_alu instid0(VALU_DEP_3) | instskip(NEXT) | instid1(VALU_DEP_2)
	v_rcp_f32_e32 v59, v23
	v_fmac_f32_e32 v30, v62, v30
	s_delay_alu instid0(VALU_DEP_2) | instskip(NEXT) | instid1(VALU_DEP_2)
	v_fma_f32 v54, -v46, v8, v50
	v_mul_f32_e32 v66, v56, v30
	s_delay_alu instid0(VALU_DEP_2) | instskip(SKIP_3) | instid1(VALU_DEP_2)
	v_fmac_f32_e32 v8, v54, v25
	s_waitcnt_depctr 0xfff
	v_fma_f32 v65, -v23, v59, 1.0
	v_fma_f32 v46, -v46, v8, v50
	v_fmac_f32_e32 v59, v65, v59
	s_delay_alu instid0(VALU_DEP_2) | instskip(NEXT) | instid1(VALU_DEP_2)
	v_div_fmas_f32 v8, v46, v25, v8
	v_dual_mul_f32 v25, v57, v59 :: v_dual_add_f32 v48, v22, v21
	v_mov_b32_dpp v21, v20 quad_perm:[2,3,0,1] row_mask:0xf bank_mask:0xf
	v_fma_f32 v22, -v26, v47, 1.0
	s_mov_b32 vcc_lo, s0
	v_div_fixup_f32 v8, v8, v4, v52
	s_delay_alu instid0(VALU_DEP_3) | instskip(SKIP_4) | instid1(VALU_DEP_4)
	v_add_f32_e32 v20, v20, v21
	v_div_scale_f32 v21, null, v34, v34, v24
	v_fmac_f32_e32 v47, v22, v47
	v_fma_f32 v22, -v31, v58, 1.0
	v_add_f32_e32 v8, v8, v49
	v_rcp_f32_e32 v61, v21
	s_delay_alu instid0(VALU_DEP_3) | instskip(NEXT) | instid1(VALU_DEP_3)
	v_mul_f32_e32 v54, v42, v47
	v_fmac_f32_e32 v58, v22, v58
	v_rcp_f32_e32 v22, v63
	s_delay_alu instid0(VALU_DEP_2) | instskip(SKIP_4) | instid1(VALU_DEP_3)
	v_fma_f32 v50, -v26, v54, v42
	s_waitcnt_depctr 0xfff
	v_fma_f32 v65, -v21, v61, 1.0
	v_fmac_f32_e32 v54, v50, v47
	v_fma_f32 v50, -v53, v66, v56
	v_fmac_f32_e32 v61, v65, v61
	v_fma_f32 v65, -v63, v22, 1.0
	s_delay_alu instid0(VALU_DEP_4) | instskip(SKIP_2) | instid1(VALU_DEP_4)
	v_fma_f32 v26, -v26, v54, v42
	v_fma_f32 v42, -v23, v25, v57
	v_fmac_f32_e32 v66, v50, v30
	v_fmac_f32_e32 v22, v65, v22
	s_delay_alu instid0(VALU_DEP_4) | instskip(NEXT) | instid1(VALU_DEP_4)
	v_div_fmas_f32 v26, v26, v47, v54
	v_fmac_f32_e32 v25, v42, v59
	s_mov_b32 vcc_lo, s3
	v_fma_f32 v49, -v53, v66, v56
	v_mul_f32_e32 v47, v64, v22
	v_div_scale_f32 v51, s1, v44, v4, v44
	v_div_fixup_f32 v26, v26, v4, v41
	v_fma_f32 v23, -v23, v25, v57
	s_delay_alu instid0(VALU_DEP_4) | instskip(NEXT) | instid1(VALU_DEP_4)
	v_fma_f32 v41, -v63, v47, v64
	v_mul_f32_e32 v62, v51, v58
	s_delay_alu instid0(VALU_DEP_4) | instskip(NEXT) | instid1(VALU_DEP_4)
	v_add_f32_e32 v26, v55, v26
	v_div_fmas_f32 v23, v23, v59, v25
	s_mov_b32 vcc_lo, s1
	s_delay_alu instid0(VALU_DEP_3) | instskip(SKIP_1) | instid1(VALU_DEP_3)
	v_fma_f32 v46, -v31, v62, v51
	v_fmac_f32_e32 v47, v41, v22
	v_div_fixup_f32 v23, v23, v29, v27
	s_delay_alu instid0(VALU_DEP_3) | instskip(SKIP_1) | instid1(VALU_DEP_4)
	v_fmac_f32_e32 v62, v46, v58
	v_mul_f32_e32 v46, v60, v61
	v_fma_f32 v27, -v63, v47, v64
	s_delay_alu instid0(VALU_DEP_3) | instskip(NEXT) | instid1(VALU_DEP_3)
	v_fma_f32 v31, -v31, v62, v51
	v_fma_f32 v42, -v21, v46, v60
	s_delay_alu instid0(VALU_DEP_2) | instskip(NEXT) | instid1(VALU_DEP_2)
	v_div_fmas_f32 v25, v31, v58, v62
	v_fmac_f32_e32 v46, v42, v61
	v_mov_b32_dpp v42, v8 row_ror:4 row_mask:0xf bank_mask:0xf
	v_mov_b32_dpp v31, v26 row_ror:4 row_mask:0xf bank_mask:0xf
	s_mov_b32 vcc_lo, s4
	v_div_fixup_f32 v25, v25, v4, v44
	v_fma_f32 v21, -v21, v46, v60
	v_sub_f32_e32 v8, v8, v42
	v_add_f32_e32 v44, v26, v31
	s_delay_alu instid0(VALU_DEP_3) | instskip(NEXT) | instid1(VALU_DEP_3)
	v_div_fmas_f32 v21, v21, v61, v46
	v_mul_f32_e32 v41, v8, v8
	v_add_f32_e32 v23, v48, v23
	v_mul_f32_e32 v48, v4, v31
	v_mul_f32_e32 v50, 0x40400000, v8
	s_mov_b32 vcc_lo, s2
	v_mul_f32_e32 v31, v29, v31
	v_add_f32_e32 v23, v25, v23
	v_fma_f32 v25, v26, v11, -v48
	v_div_fmas_f32 v30, v49, v30, v66
	s_mov_b32 vcc_lo, s5
	v_mul_f32_e32 v51, 4.0, v8
	v_div_fmas_f32 v22, v27, v22, v47
	v_mul_f32_e32 v47, v41, v11
	v_div_fixup_f32 v21, v21, v34, v24
	v_mul_f32_e32 v24, v8, v41
	v_mul_f32_e32 v25, v50, v25
	v_mul_f32_e32 v41, 0x40c00000, v41
	v_div_fixup_f32 v29, v30, v29, v45
	v_fmac_f32_e32 v31, v28, v26
	v_div_fixup_f32 v3, v22, v4, v3
	v_div_scale_f32 v45, s1, v25, v6, v25
	v_mul_f32_e32 v46, v4, v8
	v_mul_f32_e32 v8, v8, v24
	;; [unrolled: 1-line block ×5, first 2 shown]
	s_delay_alu instid0(VALU_DEP_4) | instskip(NEXT) | instid1(VALU_DEP_4)
	v_mul_f32_e32 v8, v8, v11
	v_div_scale_f32 v47, null, v32, v32, v30
	s_delay_alu instid0(VALU_DEP_4) | instskip(NEXT) | instid1(VALU_DEP_3)
	v_div_scale_f32 v28, null, v6, v6, v22
	v_mul_f32_e32 v8, v4, v8
	v_mul_f32_e32 v24, v4, v24
	v_div_scale_f32 v48, s2, v30, v32, v30
	s_delay_alu instid0(VALU_DEP_4) | instskip(NEXT) | instid1(VALU_DEP_3)
	v_rcp_f32_e32 v31, v28
	v_mul_f32_e32 v8, v33, v8
	v_rcp_f32_e32 v33, v47
	v_mul_f32_e32 v24, v35, v24
	v_div_scale_f32 v35, null, v6, v6, v25
	s_delay_alu instid0(VALU_DEP_3) | instskip(NEXT) | instid1(VALU_DEP_3)
	v_div_scale_f32 v53, s4, v8, v36, v8
	v_div_scale_f32 v49, s3, v24, v32, v24
	s_delay_alu instid0(VALU_DEP_3) | instskip(SKIP_2) | instid1(VALU_DEP_1)
	v_rcp_f32_e32 v50, v35
	s_waitcnt_depctr 0xfff
	v_fma_f32 v55, -v47, v33, 1.0
	v_fmac_f32_e32 v33, v55, v33
	s_delay_alu instid0(VALU_DEP_1) | instskip(SKIP_1) | instid1(VALU_DEP_1)
	v_mul_f32_e32 v59, v48, v33
	v_mov_b32_dpp v26, v23 row_ror:4 row_mask:0xf bank_mask:0xf
	v_mul_f32_e32 v4, v4, v26
	v_add_f32_e32 v41, v23, v26
	s_delay_alu instid0(VALU_DEP_2) | instskip(SKIP_1) | instid1(VALU_DEP_2)
	v_fma_f32 v4, v23, v11, -v4
	v_fma_f32 v23, -v28, v31, 1.0
	v_mul_f32_e32 v4, v51, v4
	s_delay_alu instid0(VALU_DEP_2) | instskip(SKIP_1) | instid1(VALU_DEP_3)
	v_fmac_f32_e32 v31, v23, v31
	v_fma_f32 v23, -v35, v50, 1.0
	v_div_scale_f32 v56, null, v6, v6, v4
	s_delay_alu instid0(VALU_DEP_2) | instskip(SKIP_1) | instid1(VALU_DEP_3)
	v_fmac_f32_e32 v50, v23, v50
	v_div_scale_f32 v57, s5, v4, v6, v4
	v_rcp_f32_e32 v23, v56
	s_delay_alu instid0(VALU_DEP_2) | instskip(SKIP_2) | instid1(VALU_DEP_3)
	v_dual_add_f32 v20, v20, v21 :: v_dual_mul_f32 v55, v45, v50
	v_div_scale_f32 v27, null, v6, v6, v46
	v_div_scale_f32 v34, vcc_lo, v46, v6, v46
	v_add_f32_e32 v20, v29, v20
	s_delay_alu instid0(VALU_DEP_3) | instskip(SKIP_1) | instid1(VALU_DEP_2)
	v_rcp_f32_e32 v21, v27
	v_div_scale_f32 v29, s0, v22, v6, v22
	v_add_f32_e32 v3, v3, v20
	s_delay_alu instid0(VALU_DEP_1) | instskip(SKIP_3) | instid1(VALU_DEP_2)
	v_mov_b32_dpp v26, v3 row_ror:4 row_mask:0xf bank_mask:0xf
	s_waitcnt_depctr 0xfff
	v_fma_f32 v20, -v27, v21, 1.0
	v_add_f32_e32 v3, v3, v26
	v_fmac_f32_e32 v21, v20, v21
	v_div_scale_f32 v20, null, v32, v32, v24
	v_div_scale_f32 v26, null, v36, v36, v8
	s_delay_alu instid0(VALU_DEP_3) | instskip(NEXT) | instid1(VALU_DEP_3)
	v_mul_f32_e32 v11, v34, v21
	v_rcp_f32_e32 v52, v20
	s_delay_alu instid0(VALU_DEP_2) | instskip(NEXT) | instid1(VALU_DEP_1)
	v_rcp_f32_e32 v54, v26
	v_fma_f32 v51, -v27, v11, v34
	s_delay_alu instid0(VALU_DEP_1)
	v_fmac_f32_e32 v11, v51, v21
	v_mul_f32_e32 v51, v29, v31
	s_waitcnt_depctr 0xfff
	v_fma_f32 v58, -v20, v52, 1.0
	v_fma_f32 v27, -v27, v11, v34
	v_fma_f32 v34, -v28, v51, v29
	s_delay_alu instid0(VALU_DEP_3) | instskip(SKIP_1) | instid1(VALU_DEP_4)
	v_fmac_f32_e32 v52, v58, v52
	v_fma_f32 v58, -v26, v54, 1.0
	v_div_fmas_f32 v11, v27, v21, v11
	s_delay_alu instid0(VALU_DEP_4) | instskip(NEXT) | instid1(VALU_DEP_4)
	v_fmac_f32_e32 v51, v34, v31
	v_mul_f32_e32 v21, v49, v52
	v_fma_f32 v27, -v35, v55, v45
	v_fmac_f32_e32 v54, v58, v54
	s_mov_b32 vcc_lo, s0
	v_fma_f32 v28, -v28, v51, v29
	v_fma_f32 v29, -v20, v21, v49
	v_fmac_f32_e32 v55, v27, v50
	v_mul_f32_e32 v27, v53, v54
	v_div_fixup_f32 v11, v11, v6, v46
	v_div_fmas_f32 v28, v28, v31, v51
	v_fmac_f32_e32 v21, v29, v52
	v_fma_f32 v29, -v35, v55, v45
	v_fma_f32 v31, -v26, v27, v53
	s_mov_b32 vcc_lo, s3
	v_div_fixup_f32 v22, v28, v6, v22
	v_fma_f32 v20, -v20, v21, v49
	v_add_f32_e32 v11, v11, v42
	v_fmac_f32_e32 v27, v31, v54
	v_fma_f32 v58, -v56, v23, 1.0
	v_add_f32_e32 v22, v44, v22
	v_div_fmas_f32 v20, v20, v52, v21
	s_mov_b32 vcc_lo, s1
	v_fma_f32 v21, -v26, v27, v53
	v_div_fmas_f32 v26, v29, v50, v55
	s_mov_b32 vcc_lo, s4
	v_mov_b32_dpp v31, v11 row_ror:8 row_mask:0xf bank_mask:0xf
	v_div_fixup_f32 v20, v20, v32, v24
	v_div_fmas_f32 v21, v21, v54, v27
	v_mov_b32_dpp v27, v22 row_ror:8 row_mask:0xf bank_mask:0xf
	v_fma_f32 v34, -v47, v59, v48
	v_fmac_f32_e32 v23, v58, v23
	v_sub_f32_e32 v11, v11, v31
	v_div_fixup_f32 v25, v26, v6, v25
	v_add_f32_e32 v20, v41, v20
	v_div_fixup_f32 v8, v21, v36, v8
	v_mul_f32_e32 v36, v6, v27
	v_dual_fmac_f32 v59, v34, v33 :: v_dual_mul_f32 v42, 0x40400000, v11
	s_delay_alu instid0(VALU_DEP_4) | instskip(SKIP_1) | instid1(VALU_DEP_3)
	v_add_f32_e32 v20, v25, v20
	s_mov_b32 vcc_lo, s2
	v_fma_f32 v25, v22, v13, -v36
	v_mul_f32_e32 v34, v57, v23
	v_fma_f32 v35, -v47, v59, v48
	v_mul_f32_e32 v29, v6, v11
	v_add_f32_e32 v3, v3, v8
	v_mul_f32_e32 v25, v42, v25
	v_fma_f32 v28, -v56, v34, v57
	v_div_fmas_f32 v26, v35, v33, v59
	s_mov_b32 vcc_lo, s5
	v_mul_f32_e32 v44, 4.0, v11
	v_div_scale_f32 v36, s1, v25, v5, v25
	v_fmac_f32_e32 v34, v28, v23
	v_mul_f32_e32 v28, v11, v11
	s_delay_alu instid0(VALU_DEP_2) | instskip(NEXT) | instid1(VALU_DEP_2)
	v_fma_f32 v24, -v56, v34, v57
	v_mul_f32_e32 v35, v28, v13
	v_div_fixup_f32 v26, v26, v32, v30
	s_delay_alu instid0(VALU_DEP_3) | instskip(SKIP_2) | instid1(VALU_DEP_4)
	v_div_fmas_f32 v21, v24, v23, v34
	v_mul_f32_e32 v23, v11, v28
	v_div_scale_f32 v24, null, v5, v5, v29
	v_add_f32_e32 v3, v26, v3
	v_div_scale_f32 v33, vcc_lo, v29, v5, v29
	s_delay_alu instid0(VALU_DEP_4) | instskip(SKIP_2) | instid1(VALU_DEP_1)
	v_mul_f32_e32 v8, v11, v23
	v_mul_f32_e32 v23, v23, v13
	v_rcp_f32_e32 v11, v24
	v_mul_f32_e32 v23, v6, v23
	v_add_f32_e32 v34, v22, v27
	v_mul_f32_e32 v27, v32, v27
	s_delay_alu instid0(VALU_DEP_3) | instskip(NEXT) | instid1(VALU_DEP_2)
	v_mul_f32_e32 v23, v38, v23
	v_fmac_f32_e32 v27, v37, v22
	v_div_fixup_f32 v4, v21, v6, v4
	v_mul_f32_e32 v21, v6, v35
	s_delay_alu instid0(VALU_DEP_4) | instskip(SKIP_1) | instid1(VALU_DEP_4)
	v_div_scale_f32 v41, s3, v23, v15, v23
	v_div_scale_f32 v35, null, v5, v5, v25
	v_add_f32_e32 v3, v4, v3
	v_fma_f32 v4, -v24, v11, 1.0
	v_div_scale_f32 v26, null, v5, v5, v21
	s_delay_alu instid0(VALU_DEP_4) | instskip(SKIP_1) | instid1(VALU_DEP_3)
	v_rcp_f32_e32 v42, v35
	v_div_scale_f32 v30, s0, v21, v5, v21
	v_fmac_f32_e32 v11, v4, v11
	v_mov_b32_dpp v22, v20 row_ror:8 row_mask:0xf bank_mask:0xf
	v_mul_f32_e32 v8, v8, v13
	v_div_scale_f32 v4, null, v15, v15, v23
	s_delay_alu instid0(VALU_DEP_3) | instskip(NEXT) | instid1(VALU_DEP_3)
	v_add_f32_e32 v32, v20, v22
	v_mul_f32_e32 v8, v6, v8
	v_mul_f32_e32 v6, v6, v22
	s_delay_alu instid0(VALU_DEP_4) | instskip(SKIP_1) | instid1(VALU_DEP_2)
	v_rcp_f32_e32 v45, v4
	v_mov_b32_dpp v22, v3 row_ror:8 row_mask:0xf bank_mask:0xf
	v_fma_f32 v6, v20, v13, -v6
	v_mul_f32_e32 v13, v33, v11
	s_delay_alu instid0(VALU_DEP_3) | instskip(NEXT) | instid1(VALU_DEP_3)
	v_add_f32_e32 v3, v3, v22
	v_mul_f32_e32 v6, v44, v6
	s_delay_alu instid0(VALU_DEP_3) | instskip(NEXT) | instid1(TRANS32_DEP_1)
	v_fma_f32 v44, -v24, v13, v33
	v_fma_f32 v51, -v4, v45, 1.0
	s_delay_alu instid0(VALU_DEP_3) | instskip(NEXT) | instid1(VALU_DEP_3)
	v_div_scale_f32 v49, null, v5, v5, v6
	v_fmac_f32_e32 v13, v44, v11
	s_delay_alu instid0(VALU_DEP_3) | instskip(SKIP_2) | instid1(VALU_DEP_4)
	v_fmac_f32_e32 v45, v51, v45
	v_mul_f32_e32 v8, v39, v8
	v_div_scale_f32 v50, s5, v6, v5, v6
	v_fma_f32 v24, -v24, v13, v33
	s_delay_alu instid0(VALU_DEP_3) | instskip(SKIP_1) | instid1(VALU_DEP_3)
	v_div_scale_f32 v22, null, v40, v40, v8
	v_div_scale_f32 v46, s4, v8, v40, v8
	v_div_fmas_f32 v11, v24, v11, v13
	v_dual_mul_f32 v13, v41, v45 :: v_dual_mul_f32 v28, 0x40c00000, v28
	s_delay_alu instid0(VALU_DEP_4) | instskip(SKIP_1) | instid1(VALU_DEP_2)
	v_rcp_f32_e32 v47, v22
	s_mov_b32 vcc_lo, s0
	v_div_fixup_f32 v11, v11, v5, v29
	s_delay_alu instid0(VALU_DEP_2) | instskip(SKIP_2) | instid1(VALU_DEP_3)
	v_fma_f32 v29, -v4, v13, v41
	v_mul_f32_e32 v27, v28, v27
	v_rcp_f32_e32 v28, v26
	v_add_f32_e32 v11, v11, v31
	s_delay_alu instid0(VALU_DEP_3) | instskip(NEXT) | instid1(VALU_DEP_3)
	v_fmac_f32_e32 v13, v29, v45
	v_div_scale_f32 v37, null, v15, v15, v27
	s_delay_alu instid0(TRANS32_DEP_2) | instskip(SKIP_1) | instid1(VALU_DEP_3)
	v_fma_f32 v51, -v22, v47, 1.0
	v_div_scale_f32 v38, s2, v27, v15, v27
	v_rcp_f32_e32 v39, v37
	s_delay_alu instid0(TRANS32_DEP_2) | instskip(NEXT) | instid1(VALU_DEP_3)
	v_fma_f32 v20, -v26, v28, 1.0
	v_fmac_f32_e32 v47, v51, v47
	v_fma_f32 v4, -v4, v13, v41
	s_delay_alu instid0(VALU_DEP_3)
	v_fmac_f32_e32 v28, v20, v28
	v_fma_f32 v20, -v35, v42, 1.0
	s_waitcnt_depctr 0xfff
	v_fma_f32 v48, -v37, v39, 1.0
	v_mul_f32_e32 v44, v30, v28
	v_fmac_f32_e32 v42, v20, v42
	v_rcp_f32_e32 v20, v49
	s_delay_alu instid0(VALU_DEP_3) | instskip(NEXT) | instid1(VALU_DEP_3)
	v_fmac_f32_e32 v39, v48, v39
	v_fma_f32 v33, -v26, v44, v30
	s_delay_alu instid0(VALU_DEP_3) | instskip(NEXT) | instid1(VALU_DEP_3)
	v_mul_f32_e32 v48, v36, v42
	v_mul_f32_e32 v52, v38, v39
	s_delay_alu instid0(VALU_DEP_3) | instskip(NEXT) | instid1(VALU_DEP_3)
	v_fmac_f32_e32 v44, v33, v28
	v_fma_f32 v24, -v35, v48, v36
	s_delay_alu instid0(TRANS32_DEP_1) | instskip(NEXT) | instid1(VALU_DEP_4)
	v_fma_f32 v51, -v49, v20, 1.0
	v_fma_f32 v33, -v37, v52, v38
	s_delay_alu instid0(VALU_DEP_4) | instskip(NEXT) | instid1(VALU_DEP_4)
	v_fma_f32 v26, -v26, v44, v30
	v_fmac_f32_e32 v48, v24, v42
	v_mul_f32_e32 v24, v46, v47
	v_fmac_f32_e32 v20, v51, v20
	v_fmac_f32_e32 v52, v33, v39
	v_div_fmas_f32 v26, v26, v28, v44
	v_fma_f32 v28, -v35, v48, v36
	v_fma_f32 v29, -v22, v24, v46
	v_mul_f32_e32 v30, v50, v20
	s_mov_b32 vcc_lo, s3
	v_div_fixup_f32 v21, v26, v5, v21
	v_div_fmas_f32 v4, v4, v45, v13
	v_fmac_f32_e32 v24, v29, v47
	ds_swizzle_b32 v29, v11 offset:swizzle(BROADCAST,32,15)
	v_fma_f32 v26, -v49, v30, v50
	s_mov_b32 vcc_lo, s1
	v_fma_f32 v31, -v37, v52, v38
	v_fma_f32 v13, -v22, v24, v46
	v_div_fmas_f32 v22, v28, v42, v48
	s_mov_b32 vcc_lo, s4
	v_fmac_f32_e32 v30, v26, v20
	v_div_fixup_f32 v4, v4, v15, v23
	v_div_fmas_f32 v13, v13, v47, v24
	s_mov_b32 vcc_lo, s2
	v_div_fixup_f32 v22, v22, v5, v25
	v_fma_f32 v23, -v49, v30, v50
	v_div_fmas_f32 v25, v31, v39, v52
	v_div_fixup_f32 v8, v13, v40, v8
	s_mov_b32 vcc_lo, s5
	v_add_f32_e32 v4, v32, v4
	v_div_fmas_f32 v13, v23, v20, v30
	v_div_fixup_f32 v20, v25, v15, v27
	v_add_f32_e32 v3, v3, v8
	s_waitcnt lgkmcnt(0)
	v_sub_f32_e32 v8, v11, v29
	v_add_f32_e32 v21, v34, v21
	v_add_f32_e32 v4, v22, v4
	v_cmp_lt_f32_e32 vcc_lo, v43, v70
	v_add_f32_e32 v3, v20, v3
	v_mul_f32_e32 v25, 4.0, v8
	v_div_fixup_f32 v6, v13, v5, v6
	ds_swizzle_b32 v24, v21 offset:swizzle(BROADCAST,32,15)
	v_mul_f32_e32 v22, v5, v8
	ds_swizzle_b32 v13, v4 offset:swizzle(BROADCAST,32,15)
	v_mul_f32_e32 v23, 0x40400000, v8
	v_add_f32_e32 v3, v6, v3
	v_cndmask_b32_e32 v11, v70, v43, vcc_lo
	v_div_scale_f32 v26, null, v9, v9, v22
	v_div_scale_f32 v27, vcc_lo, v22, v9, v22
	ds_swizzle_b32 v31, v3 offset:swizzle(BROADCAST,32,15)
	v_mul_f32_e32 v20, v8, v8
	v_rcp_f32_e32 v32, v26
	s_waitcnt lgkmcnt(2)
	v_mul_f32_e32 v30, v5, v24
	v_mul_f32_e32 v15, v15, v24
	s_delay_alu instid0(VALU_DEP_2) | instskip(NEXT) | instid1(VALU_DEP_2)
	v_fma_f32 v30, v21, v12, -v30
	v_fmac_f32_e32 v15, v19, v21
	v_add_f32_e32 v21, v21, v24
	s_waitcnt lgkmcnt(0)
	v_dual_add_f32 v3, v3, v31 :: v_dual_mul_f32 v6, v8, v20
	v_mul_f32_e32 v28, v20, v12
	v_dual_mul_f32 v20, 0x40c00000, v20 :: v_dual_mul_f32 v23, v23, v30
	s_delay_alu instid0(VALU_DEP_3) | instskip(SKIP_1) | instid1(VALU_DEP_3)
	v_mul_f32_e32 v8, v8, v6
	v_mul_f32_e32 v6, v6, v12
	v_dual_mul_f32 v28, v5, v28 :: v_dual_mul_f32 v15, v20, v15
	v_fma_f32 v20, -v26, v32, 1.0
	s_delay_alu instid0(VALU_DEP_4) | instskip(NEXT) | instid1(VALU_DEP_4)
	v_mul_f32_e32 v8, v8, v12
	v_mul_f32_e32 v6, v5, v6
	s_delay_alu instid0(VALU_DEP_4) | instskip(NEXT) | instid1(VALU_DEP_4)
	v_div_scale_f32 v19, null, v9, v9, v28
	v_fmac_f32_e32 v32, v20, v32
	s_delay_alu instid0(VALU_DEP_4) | instskip(NEXT) | instid1(VALU_DEP_4)
	v_mul_f32_e32 v8, v5, v8
	v_mul_f32_e32 v6, v18, v6
	s_delay_alu instid0(VALU_DEP_4) | instskip(SKIP_2) | instid1(VALU_DEP_3)
	v_rcp_f32_e32 v30, v19
	v_div_scale_f32 v18, null, v9, v9, v23
	v_mul_f32_e32 v5, v5, v13
	v_div_scale_f32 v20, null, v14, v14, v6
	v_mul_f32_e32 v8, v17, v8
	v_div_scale_f32 v35, null, v14, v14, v15
	v_rcp_f32_e32 v38, v18
	v_fma_f32 v5, v4, v12, -v5
	v_mul_f32_e32 v12, v27, v32
	v_rcp_f32_e32 v40, v20
	v_div_scale_f32 v41, null, v16, v16, v8
	v_rcp_f32_e32 v17, v35
	v_fma_f32 v39, -v19, v30, 1.0
	v_mul_f32_e32 v5, v25, v5
	v_fma_f32 v25, -v26, v12, v27
	v_rcp_f32_e32 v43, v41
	v_div_scale_f32 v33, s0, v28, v9, v28
	v_fmac_f32_e32 v30, v39, v30
	v_fma_f32 v39, -v18, v38, 1.0
	v_div_scale_f32 v45, null, v9, v9, v5
	v_fmac_f32_e32 v12, v25, v32
	v_fma_f32 v46, -v20, v40, 1.0
	v_div_scale_f32 v34, s1, v23, v9, v23
	v_div_scale_f32 v37, s3, v6, v14, v6
	v_fma_f32 v44, -v35, v17, 1.0
	v_mul_f32_e32 v25, v33, v30
	v_fmac_f32_e32 v38, v39, v38
	v_rcp_f32_e32 v39, v45
	v_fma_f32 v26, -v26, v12, v27
	v_fmac_f32_e32 v40, v46, v40
	v_fma_f32 v46, -v41, v43, 1.0
	v_div_scale_f32 v42, s4, v8, v16, v8
	v_fmac_f32_e32 v17, v44, v17
	v_fma_f32 v27, -v19, v25, v33
	v_mul_f32_e32 v44, v34, v38
	v_div_fmas_f32 v12, v26, v32, v12
	v_dual_mul_f32 v26, v37, v40 :: v_dual_fmac_f32 v43, v46, v43
	v_div_scale_f32 v36, s2, v15, v14, v15
	v_fmac_f32_e32 v25, v27, v30
	v_fma_f32 v27, -v18, v44, v34
	v_fma_f32 v46, -v45, v39, 1.0
	v_div_fixup_f32 v12, v12, v9, v22
	v_fma_f32 v22, -v20, v26, v37
	v_dual_mul_f32 v48, v42, v43 :: v_dual_mul_f32 v47, v36, v17
	v_fma_f32 v19, -v19, v25, v33
	v_dual_fmac_f32 v44, v27, v38 :: v_dual_fmac_f32 v39, v46, v39
	s_delay_alu instid0(VALU_DEP_4) | instskip(NEXT) | instid1(VALU_DEP_4)
	v_fmac_f32_e32 v26, v22, v40
	v_fma_f32 v22, -v41, v48, v42
	v_div_scale_f32 v27, s5, v5, v9, v5
	s_mov_b32 vcc_lo, s0
	v_fma_f32 v32, -v35, v47, v36
	v_div_fmas_f32 v19, v19, v30, v25
	v_fma_f32 v20, -v20, v26, v37
	v_fmac_f32_e32 v48, v22, v43
	v_mul_f32_e32 v25, v27, v39
	v_fma_f32 v18, -v18, v44, v34
	s_mov_b32 vcc_lo, s3
	v_fmac_f32_e32 v47, v32, v17
	v_div_fmas_f32 v20, v20, v40, v26
	v_fma_f32 v22, -v41, v48, v42
	v_fma_f32 v26, -v45, v25, v27
	s_mov_b32 vcc_lo, s1
	v_fma_f32 v24, -v35, v47, v36
	v_div_fmas_f32 v18, v18, v38, v44
	s_mov_b32 vcc_lo, s4
	v_fmac_f32_e32 v25, v26, v39
	v_div_fmas_f32 v22, v22, v43, v48
	s_mov_b32 vcc_lo, s2
	v_add_f32_e32 v4, v4, v13
	v_div_fixup_f32 v6, v20, v14, v6
	v_fma_f32 v13, -v45, v25, v27
	v_div_fixup_f32 v8, v22, v16, v8
	v_div_fmas_f32 v16, v24, v17, v47
	s_mov_b32 vcc_lo, s5
	v_add_f32_e32 v4, v4, v6
	v_div_fmas_f32 v13, v13, v39, v25
	v_add_f32_e32 v3, v3, v8
	v_div_fixup_f32 v8, v16, v14, v15
	v_div_fixup_f32 v14, v19, v9, v28
	;; [unrolled: 1-line block ×4, first 2 shown]
	v_cmp_gt_f32_e32 vcc_lo, v7, v10
	v_add_f32_e32 v3, v8, v3
	v_dual_add_f32 v12, v12, v29 :: v_dual_add_f32 v13, v21, v14
	v_add_f32_e32 v4, v6, v4
	v_cndmask_b32_e32 v7, v10, v7, vcc_lo
	s_delay_alu instid0(VALU_DEP_4)
	v_add_f32_e32 v3, v5, v3
	ds_bpermute_b32 v8, v2, v9 offset:124
	ds_bpermute_b32 v9, v2, v11 offset:124
	;; [unrolled: 1-line block ×7, first 2 shown]
	s_mov_b32 s0, exec_lo
	v_cmpx_eq_u32_e32 0, v1
	s_cbranch_execz .LBB34_97
; %bb.96:
	v_lshrrev_b32_e32 v2, 5, v0
	s_delay_alu instid0(VALU_DEP_1)
	v_mul_u32_u24_e32 v2, 28, v2
	s_waitcnt lgkmcnt(5)
	ds_store_2addr_b32 v2, v8, v9 offset0:56 offset1:57
	s_waitcnt lgkmcnt(4)
	ds_store_2addr_b32 v2, v10, v11 offset0:58 offset1:59
	s_waitcnt lgkmcnt(3)
	ds_store_2addr_b32 v2, v12, v13 offset0:60 offset1:61
	s_waitcnt lgkmcnt(3)
	ds_store_b32 v2, v14 offset:248
.LBB34_97:
	s_or_b32 exec_lo, exec_lo, s0
	s_delay_alu instid0(SALU_CYCLE_1)
	s_mov_b32 s4, exec_lo
	s_waitcnt lgkmcnt(0)
	s_barrier
	buffer_gl0_inv
	v_cmpx_gt_u32_e32 32, v0
	s_cbranch_execz .LBB34_99
; %bb.98:
	v_and_b32_e32 v2, 7, v1
	s_delay_alu instid0(VALU_DEP_1)
	v_mul_u32_u24_e32 v9, 28, v2
	v_cmp_ne_u32_e32 vcc_lo, 7, v2
	ds_load_2addr_b32 v[3:4], v9 offset0:56 offset1:57
	ds_load_2addr_b32 v[5:6], v9 offset0:58 offset1:59
	;; [unrolled: 1-line block ×3, first 2 shown]
	v_add_co_ci_u32_e32 v10, vcc_lo, 0, v1, vcc_lo
	ds_load_b32 v9, v9 offset:248
	v_lshlrev_b32_e32 v10, 2, v10
	s_waitcnt lgkmcnt(3)
	ds_bpermute_b32 v11, v10, v3
	ds_bpermute_b32 v13, v10, v4
	s_waitcnt lgkmcnt(3)
	ds_bpermute_b32 v15, v10, v7
	s_waitcnt lgkmcnt(2)
	v_add_f32_e32 v19, v3, v11
	v_cmp_gt_u32_e32 vcc_lo, 6, v2
	v_mul_f32_e32 v23, v11, v11
	v_mul_f32_e32 v21, v7, v11
	v_cndmask_b32_e64 v17, 0, 1, vcc_lo
	s_waitcnt lgkmcnt(1)
	v_cmp_gt_f32_e32 vcc_lo, v4, v13
	s_delay_alu instid0(VALU_DEP_2)
	v_lshlrev_b32_e32 v17, 1, v17
	s_waitcnt lgkmcnt(0)
	v_dual_cndmask_b32 v4, v4, v13 :: v_dual_add_f32 v13, v7, v15
	ds_bpermute_b32 v12, v10, v6
	ds_bpermute_b32 v14, v10, v5
	;; [unrolled: 1-line block ×4, first 2 shown]
	v_add_lshl_u32 v17, v17, v1, 2
	s_waitcnt lgkmcnt(3)
	v_sub_f32_e32 v12, v12, v6
	s_waitcnt lgkmcnt(2)
	v_cmp_lt_f32_e32 vcc_lo, v5, v14
	v_mul_f32_e32 v18, v3, v3
	s_waitcnt lgkmcnt(0)
	v_dual_sub_f32 v20, v3, v11 :: v_dual_add_f32 v9, v9, v10
	v_mul_f32_e32 v25, v12, v12
	v_cndmask_b32_e32 v5, v5, v14, vcc_lo
	v_fma_f32 v22, -v3, v11, v18
	v_dual_mul_f32 v18, v18, v15 :: v_dual_mul_f32 v27, 0x40400000, v12
	v_fma_f32 v15, v3, v15, -v21
	v_dual_add_f32 v14, v8, v16 :: v_dual_mul_f32 v29, v3, v25
	v_mul_f32_e32 v8, v8, v11
	v_dual_mul_f32 v24, v19, v19 :: v_dual_mul_f32 v21, v12, v25
	v_dual_mul_f32 v26, v12, v11 :: v_dual_mul_f32 v25, 0x40c00000, v25
	v_mul_f32_e32 v15, v27, v15
	v_mul_f32_e32 v27, v29, v11
	s_delay_alu instid0(VALU_DEP_3) | instskip(NEXT) | instid1(VALU_DEP_3)
	v_div_scale_f32 v28, vcc_lo, v26, v19, v26
	v_div_scale_f32 v30, s0, v15, v19, v15
	v_dual_fmac_f32 v18, v7, v23 :: v_dual_mul_f32 v7, 4.0, v12
	v_fma_f32 v8, v3, v16, -v8
	v_div_scale_f32 v23, null, v19, v19, v26
	v_mul_f32_e32 v16, v19, v24
	v_div_scale_f32 v31, null, v19, v19, v27
	s_delay_alu instid0(VALU_DEP_4) | instskip(NEXT) | instid1(VALU_DEP_4)
	v_dual_mul_f32 v7, v7, v8 :: v_dual_mul_f32 v8, v12, v21
	v_rcp_f32_e32 v12, v23
	v_div_scale_f32 v29, null, v19, v19, v15
	s_delay_alu instid0(VALU_DEP_3) | instskip(SKIP_1) | instid1(VALU_DEP_2)
	v_rcp_f32_e32 v34, v31
	v_div_scale_f32 v35, s1, v27, v19, v27
	v_rcp_f32_e32 v32, v29
	s_delay_alu instid0(TRANS32_DEP_3) | instskip(NEXT) | instid1(VALU_DEP_1)
	v_fma_f32 v33, -v23, v12, 1.0
	v_dual_mul_f32 v21, v3, v21 :: v_dual_fmac_f32 v12, v33, v12
	s_delay_alu instid0(VALU_DEP_1) | instskip(SKIP_4) | instid1(VALU_DEP_3)
	v_mul_f32_e32 v21, v21, v11
	s_waitcnt_depctr 0xfff
	v_fma_f32 v33, -v29, v32, 1.0
	v_mul_f32_e32 v36, v28, v12
	v_dual_mul_f32 v3, v3, v8 :: v_dual_mul_f32 v20, v20, v21
	v_fmac_f32_e32 v32, v33, v32
	s_delay_alu instid0(VALU_DEP_3) | instskip(NEXT) | instid1(VALU_DEP_3)
	v_fma_f32 v39, -v23, v36, v28
	v_mul_f32_e32 v3, v3, v11
	s_delay_alu instid0(VALU_DEP_4) | instskip(NEXT) | instid1(VALU_DEP_3)
	v_div_scale_f32 v21, null, v24, v24, v20
	v_fmac_f32_e32 v36, v39, v12
	s_delay_alu instid0(VALU_DEP_2) | instskip(NEXT) | instid1(VALU_DEP_1)
	v_rcp_f32_e32 v37, v21
	v_fma_f32 v23, -v23, v36, v28
	s_delay_alu instid0(VALU_DEP_1)
	v_div_fmas_f32 v12, v23, v12, v36
	v_mul_f32_e32 v23, v30, v32
	s_waitcnt_depctr 0xfff
	v_fma_f32 v41, -v21, v37, 1.0
	v_fmac_f32_e32 v22, v11, v11
	v_mul_f32_e32 v18, v25, v18
	s_mov_b32 vcc_lo, s1
	v_div_fixup_f32 v12, v12, v19, v26
	v_fmac_f32_e32 v37, v41, v37
	v_mul_f32_e32 v3, v22, v3
	v_fma_f32 v22, -v31, v34, 1.0
	v_div_scale_f32 v8, null, v24, v24, v18
	v_div_scale_f32 v25, null, v19, v19, v7
	s_delay_alu instid0(VALU_DEP_4) | instskip(NEXT) | instid1(VALU_DEP_4)
	v_div_scale_f32 v38, null, v16, v16, v3
	v_fmac_f32_e32 v34, v22, v34
	v_div_scale_f32 v22, s2, v20, v24, v20
	s_delay_alu instid0(VALU_DEP_3)
	v_rcp_f32_e32 v33, v38
	v_rcp_f32_e32 v11, v8
	v_div_scale_f32 v39, s3, v3, v16, v3
	v_add_f32_e32 v6, v6, v12
	s_waitcnt_depctr 0xfff
	v_fma_f32 v28, -v38, v33, 1.0
	v_mul_f32_e32 v40, v35, v34
	v_fma_f32 v41, -v8, v11, 1.0
	s_delay_alu instid0(VALU_DEP_3) | instskip(NEXT) | instid1(VALU_DEP_3)
	v_fmac_f32_e32 v33, v28, v33
	v_fma_f32 v42, -v31, v40, v35
	s_delay_alu instid0(VALU_DEP_1) | instskip(SKIP_1) | instid1(VALU_DEP_2)
	v_dual_fmac_f32 v11, v41, v11 :: v_dual_fmac_f32 v40, v42, v34
	v_mul_f32_e32 v42, v22, v37
	v_fma_f32 v28, -v31, v40, v35
	s_delay_alu instid0(VALU_DEP_2) | instskip(NEXT) | instid1(VALU_DEP_1)
	v_fma_f32 v31, -v21, v42, v22
	v_fmac_f32_e32 v42, v31, v37
	v_mul_f32_e32 v31, v39, v33
	s_delay_alu instid0(VALU_DEP_4)
	v_div_fmas_f32 v26, v28, v34, v40
	v_fma_f32 v28, -v29, v23, v30
	s_mov_b32 vcc_lo, s2
	v_fma_f32 v21, -v21, v42, v22
	v_fma_f32 v22, -v38, v31, v39
	v_div_fixup_f32 v12, v26, v19, v27
	v_fmac_f32_e32 v23, v28, v32
	v_div_scale_f32 v27, s1, v18, v24, v18
	s_delay_alu instid0(VALU_DEP_4) | instskip(SKIP_1) | instid1(VALU_DEP_4)
	v_fmac_f32_e32 v31, v22, v33
	v_div_fmas_f32 v21, v21, v37, v42
	v_fma_f32 v29, -v29, v23, v30
	s_delay_alu instid0(VALU_DEP_4)
	v_mul_f32_e32 v22, v27, v11
	s_mov_b32 vcc_lo, s0
	v_rcp_f32_e32 v26, v25
	ds_bpermute_b32 v28, v17, v6
	v_div_fmas_f32 v23, v29, v32, v23
	v_fma_f32 v29, -v38, v31, v39
	s_mov_b32 vcc_lo, s3
	v_fma_f32 v32, -v8, v22, v27
	ds_bpermute_b32 v30, v17, v19
	v_div_fixup_f32 v15, v23, v19, v15
	v_div_fmas_f32 v29, v29, v33, v31
	s_mov_b32 vcc_lo, s1
	v_fma_f32 v34, -v25, v26, 1.0
	s_delay_alu instid0(VALU_DEP_2) | instskip(NEXT) | instid1(VALU_DEP_2)
	v_div_fixup_f32 v3, v29, v16, v3
	v_fmac_f32_e32 v26, v34, v26
	v_div_scale_f32 v34, s0, v7, v19, v7
	s_delay_alu instid0(VALU_DEP_3) | instskip(NEXT) | instid1(VALU_DEP_2)
	v_add_f32_e32 v3, v9, v3
	v_dual_fmac_f32 v22, v32, v11 :: v_dual_mul_f32 v31, v34, v26
	s_delay_alu instid0(VALU_DEP_1) | instskip(NEXT) | instid1(VALU_DEP_2)
	v_fma_f32 v8, -v8, v22, v27
	v_fma_f32 v16, -v25, v31, v34
	s_waitcnt lgkmcnt(0)
	v_sub_f32_e32 v29, v19, v30
	s_delay_alu instid0(VALU_DEP_3)
	v_div_fmas_f32 v8, v8, v11, v22
	s_mov_b32 vcc_lo, s0
	v_fmac_f32_e32 v31, v16, v26
	v_div_fixup_f32 v16, v21, v24, v20
	v_add_f32_e32 v27, v19, v30
	v_div_fixup_f32 v8, v8, v24, v18
	ds_bpermute_b32 v20, v17, v5
	v_dual_add_f32 v14, v14, v16 :: v_dual_add_f32 v3, v8, v3
	v_add_f32_e32 v8, v13, v12
	v_fma_f32 v9, -v25, v31, v34
	ds_bpermute_b32 v22, v17, v8
	v_div_fmas_f32 v9, v9, v26, v31
	v_mul_f32_e32 v26, v27, v27
	s_delay_alu instid0(VALU_DEP_2) | instskip(NEXT) | instid1(VALU_DEP_1)
	v_div_fixup_f32 v7, v9, v19, v7
	v_dual_sub_f32 v10, v28, v6 :: v_dual_add_f32 v3, v7, v3
	s_delay_alu instid0(VALU_DEP_1)
	v_mul_f32_e32 v16, v10, v10
	v_add_f32_e32 v9, v15, v14
	ds_bpermute_b32 v7, v17, v4
	v_mul_f32_e32 v34, 0x40400000, v10
	v_mul_f32_e32 v14, v10, v16
	;; [unrolled: 1-line block ×3, first 2 shown]
	ds_bpermute_b32 v32, v17, v9
	ds_bpermute_b32 v17, v17, v3
	v_mul_f32_e32 v21, v19, v14
	s_delay_alu instid0(VALU_DEP_1) | instskip(NEXT) | instid1(VALU_DEP_1)
	v_mul_f32_e32 v21, v21, v30
	v_dual_mul_f32 v28, v10, v30 :: v_dual_mul_f32 v21, v29, v21
	s_delay_alu instid0(VALU_DEP_1) | instskip(NEXT) | instid1(VALU_DEP_1)
	v_div_scale_f32 v11, null, v27, v27, v28
	v_rcp_f32_e32 v18, v11
	s_waitcnt lgkmcnt(0)
	v_add_f32_e32 v3, v3, v17
	s_waitcnt_depctr 0xfff
	v_fma_f32 v13, -v11, v18, 1.0
	s_delay_alu instid0(VALU_DEP_1) | instskip(SKIP_1) | instid1(VALU_DEP_1)
	v_fmac_f32_e32 v18, v13, v18
	v_div_scale_f32 v13, vcc_lo, v28, v27, v28
	v_mul_f32_e32 v23, v13, v18
	s_delay_alu instid0(VALU_DEP_1) | instskip(NEXT) | instid1(VALU_DEP_1)
	v_fma_f32 v31, -v11, v23, v13
	v_fmac_f32_e32 v23, v31, v18
	v_div_scale_f32 v31, null, v26, v26, v21
	s_delay_alu instid0(VALU_DEP_2) | instskip(NEXT) | instid1(VALU_DEP_1)
	v_fma_f32 v11, -v11, v23, v13
	v_div_fmas_f32 v11, v11, v18, v23
	v_cmp_gt_f32_e32 vcc_lo, v4, v7
	s_delay_alu instid0(VALU_DEP_2) | instskip(SKIP_1) | instid1(VALU_DEP_2)
	v_div_fixup_f32 v11, v11, v27, v28
	v_cndmask_b32_e32 v4, v4, v7, vcc_lo
	v_dual_mul_f32 v7, v8, v30 :: v_dual_add_f32 v6, v6, v11
	v_add_f32_e32 v11, v8, v22
	s_delay_alu instid0(VALU_DEP_2) | instskip(SKIP_1) | instid1(VALU_DEP_2)
	v_fma_f32 v7, v19, v22, -v7
	v_mul_f32_e32 v12, v12, v30
	v_dual_mul_f32 v22, v24, v22 :: v_dual_mul_f32 v7, v34, v7
	s_delay_alu instid0(VALU_DEP_2) | instskip(SKIP_1) | instid1(VALU_DEP_1)
	v_div_scale_f32 v15, null, v27, v27, v12
	v_div_scale_f32 v13, s0, v12, v27, v12
	s_mov_b32 vcc_lo, s0
	s_delay_alu instid0(VALU_DEP_2) | instskip(SKIP_1) | instid1(VALU_DEP_1)
	v_rcp_f32_e32 v25, v15
	v_div_scale_f32 v34, null, v27, v27, v7
	v_rcp_f32_e32 v35, v34
	s_waitcnt_depctr 0xfff
	v_fma_f32 v29, -v15, v25, 1.0
	s_delay_alu instid0(VALU_DEP_1) | instskip(SKIP_2) | instid1(VALU_DEP_2)
	v_fmac_f32_e32 v25, v29, v25
	v_rcp_f32_e32 v29, v31
	v_dual_mul_f32 v33, v27, v26 :: v_dual_mul_f32 v16, 0x40c00000, v16
	v_mul_f32_e32 v18, v13, v25
	s_delay_alu instid0(VALU_DEP_1) | instskip(SKIP_3) | instid1(VALU_DEP_2)
	v_fma_f32 v23, -v15, v18, v13
	s_waitcnt_depctr 0xfff
	v_fma_f32 v28, -v31, v29, 1.0
	v_fmac_f32_e32 v18, v23, v25
	v_fmac_f32_e32 v29, v28, v29
	v_div_scale_f32 v23, s1, v21, v26, v21
	v_mul_f32_e32 v14, v10, v14
	s_delay_alu instid0(VALU_DEP_4) | instskip(SKIP_1) | instid1(VALU_DEP_4)
	v_fma_f32 v13, -v15, v18, v13
	v_fma_f32 v28, -v19, v30, v24
	v_dual_mul_f32 v15, v23, v29 :: v_dual_mul_f32 v10, 4.0, v10
	s_delay_alu instid0(VALU_DEP_3) | instskip(SKIP_1) | instid1(VALU_DEP_3)
	v_div_fmas_f32 v13, v13, v25, v18
	v_cmp_gt_u32_e32 vcc_lo, 4, v2
	v_fma_f32 v24, -v31, v15, v23
	v_fmac_f32_e32 v28, v30, v30
	s_delay_alu instid0(VALU_DEP_4) | instskip(SKIP_1) | instid1(VALU_DEP_4)
	v_div_fixup_f32 v12, v13, v27, v12
	v_cndmask_b32_e64 v2, 0, 1, vcc_lo
	v_fmac_f32_e32 v15, v24, v29
	s_mov_b32 vcc_lo, s1
	s_delay_alu instid0(VALU_DEP_2) | instskip(NEXT) | instid1(VALU_DEP_2)
	v_lshlrev_b32_e32 v2, 2, v2
	v_fma_f32 v23, -v31, v15, v23
	s_delay_alu instid0(VALU_DEP_2) | instskip(NEXT) | instid1(VALU_DEP_2)
	v_add_lshl_u32 v2, v2, v1, 2
	v_div_fmas_f32 v15, v23, v29, v15
	ds_bpermute_b32 v23, v2, v6
	ds_bpermute_b32 v29, v2, v27
	v_div_fixup_f32 v15, v15, v26, v21
	s_waitcnt lgkmcnt(1)
	v_sub_f32_e32 v17, v23, v6
	s_waitcnt lgkmcnt(0)
	s_delay_alu instid0(VALU_DEP_1) | instskip(NEXT) | instid1(VALU_DEP_1)
	v_dual_mul_f32 v18, v30, v30 :: v_dual_mul_f32 v23, v17, v29
	v_fmac_f32_e32 v22, v18, v8
	v_fma_f32 v8, -v34, v35, 1.0
	v_mul_f32_e32 v14, v19, v14
	v_add_f32_e32 v18, v9, v32
	s_delay_alu instid0(VALU_DEP_4) | instskip(NEXT) | instid1(VALU_DEP_4)
	v_dual_add_f32 v11, v11, v12 :: v_dual_mul_f32 v16, v16, v22
	v_fmac_f32_e32 v35, v8, v35
	v_div_scale_f32 v8, s0, v7, v27, v7
	v_mul_f32_e32 v9, v9, v30
	s_delay_alu instid0(VALU_DEP_4) | instskip(SKIP_2) | instid1(VALU_DEP_3)
	v_div_scale_f32 v22, null, v26, v26, v16
	v_add_f32_e32 v13, v18, v15
	s_mov_b32 vcc_lo, s0
	v_fma_f32 v9, v19, v32, -v9
	s_delay_alu instid0(VALU_DEP_3) | instskip(SKIP_2) | instid1(VALU_DEP_3)
	v_rcp_f32_e32 v31, v22
	v_mul_f32_e32 v12, v17, v17
	v_div_scale_f32 v37, s3, v16, v26, v16
	v_mul_f32_e32 v9, v10, v9
	ds_bpermute_b32 v15, v2, v11
	v_div_scale_f32 v36, null, v27, v27, v9
	v_fma_f32 v32, -v22, v31, 1.0
	v_mul_f32_e32 v14, v14, v30
	v_mul_f32_e32 v30, v8, v35
	s_delay_alu instid0(VALU_DEP_3) | instskip(NEXT) | instid1(VALU_DEP_3)
	v_fmac_f32_e32 v31, v32, v31
	v_mul_f32_e32 v14, v28, v14
	v_rcp_f32_e32 v32, v36
	s_delay_alu instid0(VALU_DEP_1) | instskip(SKIP_1) | instid1(VALU_DEP_2)
	v_div_scale_f32 v25, null, v33, v33, v14
	v_div_scale_f32 v19, s2, v14, v33, v14
	v_rcp_f32_e32 v28, v25
	s_waitcnt_depctr 0xfff
	v_fma_f32 v24, -v25, v28, 1.0
	s_delay_alu instid0(VALU_DEP_1) | instskip(SKIP_1) | instid1(VALU_DEP_2)
	v_fmac_f32_e32 v28, v24, v28
	v_fma_f32 v24, -v34, v30, v8
	v_mul_f32_e32 v10, v19, v28
	s_delay_alu instid0(VALU_DEP_2) | instskip(NEXT) | instid1(VALU_DEP_2)
	v_fmac_f32_e32 v30, v24, v35
	v_fma_f32 v24, -v25, v10, v19
	s_delay_alu instid0(VALU_DEP_2) | instskip(SKIP_1) | instid1(VALU_DEP_2)
	v_fma_f32 v8, -v34, v30, v8
	v_fma_f32 v34, -v36, v32, 1.0
	v_div_fmas_f32 v30, v8, v35, v30
	s_mov_b32 vcc_lo, s2
	s_delay_alu instid0(VALU_DEP_2) | instskip(NEXT) | instid1(VALU_DEP_2)
	v_fmac_f32_e32 v32, v34, v32
	v_div_fixup_f32 v7, v30, v27, v7
	s_delay_alu instid0(VALU_DEP_1)
	v_add_f32_e32 v7, v7, v13
	v_mul_f32_e32 v13, v27, v12
	v_fmac_f32_e32 v10, v24, v28
	ds_bpermute_b32 v18, v2, v7
	v_mul_f32_e32 v13, v13, v29
	v_fma_f32 v8, -v25, v10, v19
	v_div_scale_f32 v25, s0, v9, v27, v9
	s_delay_alu instid0(VALU_DEP_2) | instskip(SKIP_1) | instid1(VALU_DEP_1)
	v_div_fmas_f32 v8, v8, v28, v10
	s_mov_b32 vcc_lo, s3
	v_div_fixup_f32 v14, v8, v33, v14
	v_add_f32_e32 v8, v27, v29
	s_delay_alu instid0(VALU_DEP_2) | instskip(NEXT) | instid1(VALU_DEP_2)
	v_dual_mul_f32 v24, v37, v31 :: v_dual_add_f32 v3, v3, v14
	v_mul_f32_e32 v21, v8, v8
	s_delay_alu instid0(VALU_DEP_2) | instskip(NEXT) | instid1(VALU_DEP_1)
	v_fma_f32 v19, -v22, v24, v37
	v_fmac_f32_e32 v24, v19, v31
	s_delay_alu instid0(VALU_DEP_1) | instskip(NEXT) | instid1(VALU_DEP_1)
	v_fma_f32 v19, -v22, v24, v37
	v_div_fmas_f32 v19, v19, v31, v24
	v_dual_sub_f32 v31, v27, v29 :: v_dual_mul_f32 v10, v25, v32
	s_mov_b32 vcc_lo, s0
	s_delay_alu instid0(VALU_DEP_1) | instskip(NEXT) | instid1(VALU_DEP_1)
	v_fma_f32 v22, -v36, v10, v25
	v_fmac_f32_e32 v10, v22, v32
	v_div_scale_f32 v22, null, v8, v8, v23
	s_delay_alu instid0(VALU_DEP_2) | instskip(NEXT) | instid1(VALU_DEP_1)
	v_fma_f32 v14, -v36, v10, v25
	v_div_fmas_f32 v10, v14, v32, v10
	v_cmp_lt_f32_e32 vcc_lo, v5, v20
	s_delay_alu instid0(VALU_DEP_2)
	v_div_fixup_f32 v9, v10, v27, v9
	v_cndmask_b32_e32 v5, v5, v20, vcc_lo
	v_div_fixup_f32 v16, v19, v26, v16
	v_rcp_f32_e32 v19, v22
	v_mul_f32_e32 v20, v17, v12
	ds_bpermute_b32 v14, v2, v5
	v_dual_add_f32 v3, v16, v3 :: v_dual_mul_f32 v28, v27, v20
	v_mul_f32_e32 v20, v17, v20
	s_delay_alu instid0(VALU_DEP_2) | instskip(SKIP_1) | instid1(VALU_DEP_4)
	v_add_f32_e32 v3, v9, v3
	v_fma_f32 v10, -v22, v19, 1.0
	v_mul_f32_e32 v28, v28, v29
	s_delay_alu instid0(VALU_DEP_2)
	v_dual_mul_f32 v20, v27, v20 :: v_dual_fmac_f32 v19, v10, v19
	v_div_scale_f32 v9, vcc_lo, v23, v8, v23
	ds_bpermute_b32 v10, v2, v4
	v_div_scale_f32 v25, null, v8, v8, v13
	v_mul_f32_e32 v16, v9, v19
	v_mul_f32_e32 v20, v20, v29
	ds_bpermute_b32 v2, v2, v3
	v_fma_f32 v24, -v22, v16, v9
	s_delay_alu instid0(VALU_DEP_1) | instskip(SKIP_1) | instid1(VALU_DEP_1)
	v_fmac_f32_e32 v16, v24, v19
	v_rcp_f32_e32 v24, v25
	v_fma_f32 v22, -v22, v16, v9
	s_waitcnt lgkmcnt(1)
	v_cmp_gt_f32_e64 s0, v4, v10
	s_delay_alu instid0(VALU_DEP_1) | instskip(NEXT) | instid1(VALU_DEP_3)
	v_cndmask_b32_e64 v9, v4, v10, s0
	v_div_fmas_f32 v10, v22, v19, v16
	v_mul_f32_e32 v16, v11, v29
	v_mul_f32_e32 v4, v31, v28
	;; [unrolled: 1-line block ×3, first 2 shown]
	v_mul_f32_e32 v17, 4.0, v17
	v_fma_f32 v19, -v25, v24, 1.0
	v_fma_f32 v16, v27, v15, -v16
	v_div_scale_f32 v22, null, v21, v21, v4
	v_div_fixup_f32 v23, v10, v8, v23
	s_delay_alu instid0(VALU_DEP_4) | instskip(NEXT) | instid1(VALU_DEP_4)
	v_fmac_f32_e32 v24, v19, v24
	v_mul_f32_e32 v16, v28, v16
	v_fma_f32 v28, -v27, v29, v26
	v_mul_f32_e32 v26, v26, v15
	v_add_f32_e32 v15, v11, v15
	v_rcp_f32_e32 v31, v22
	v_div_scale_f32 v33, null, v8, v8, v16
	v_fmac_f32_e32 v28, v29, v29
	v_div_scale_f32 v19, vcc_lo, v13, v8, v13
	s_delay_alu instid0(VALU_DEP_3)
	v_rcp_f32_e32 v35, v33
	s_waitcnt lgkmcnt(0)
	v_add_f32_e32 v2, v3, v2
	v_mul_f32_e32 v20, v28, v20
	v_mul_f32_e32 v28, v29, v29
	;; [unrolled: 1-line block ×3, first 2 shown]
	v_fma_f32 v34, -v22, v31, 1.0
	v_mul_f32_e32 v32, v19, v24
	s_delay_alu instid0(VALU_DEP_4) | instskip(NEXT) | instid1(VALU_DEP_4)
	v_dual_add_f32 v7, v7, v18 :: v_dual_fmac_f32 v26, v28, v11
	v_fma_f32 v27, v27, v18, -v29
	v_fma_f32 v36, -v33, v35, 1.0
	v_dual_mul_f32 v30, v8, v21 :: v_dual_fmac_f32 v31, v34, v31
	v_fma_f32 v10, -v25, v32, v19
	s_delay_alu instid0(VALU_DEP_4) | instskip(NEXT) | instid1(VALU_DEP_4)
	v_mul_f32_e32 v17, v17, v27
	v_dual_fmac_f32 v35, v36, v35 :: v_dual_mul_f32 v12, 0x40c00000, v12
	s_delay_alu instid0(VALU_DEP_4) | instskip(SKIP_1) | instid1(VALU_DEP_3)
	v_div_scale_f32 v34, null, v30, v30, v20
	v_div_scale_f32 v28, s0, v4, v21, v4
	v_mul_f32_e32 v12, v12, v26
	s_delay_alu instid0(VALU_DEP_3) | instskip(SKIP_1) | instid1(VALU_DEP_3)
	v_rcp_f32_e32 v37, v34
	v_fmac_f32_e32 v32, v10, v24
	v_mul_f32_e32 v10, v28, v31
	v_div_scale_f32 v36, s1, v16, v8, v16
	v_div_scale_f32 v26, null, v21, v21, v12
	v_div_scale_f32 v40, null, v8, v8, v17
	v_fma_f32 v19, -v25, v32, v19
	s_delay_alu instid0(VALU_DEP_3) | instskip(NEXT) | instid1(TRANS32_DEP_2)
	v_rcp_f32_e32 v39, v26
	v_fma_f32 v38, -v34, v37, 1.0
	v_fma_f32 v25, -v22, v10, v28
	v_mul_f32_e32 v29, v36, v35
	v_div_scale_f32 v27, s2, v20, v30, v20
	s_delay_alu instid0(VALU_DEP_3) | instskip(NEXT) | instid1(VALU_DEP_3)
	v_dual_fmac_f32 v37, v38, v37 :: v_dual_fmac_f32 v10, v25, v31
	v_fma_f32 v25, -v33, v29, v36
	v_div_scale_f32 v42, s3, v12, v21, v12
	s_delay_alu instid0(TRANS32_DEP_1) | instskip(NEXT) | instid1(VALU_DEP_4)
	v_fma_f32 v38, -v26, v39, 1.0
	v_mul_f32_e32 v41, v27, v37
	v_div_fmas_f32 v19, v19, v24, v32
	v_fma_f32 v22, -v22, v10, v28
	v_fmac_f32_e32 v29, v25, v35
	v_fmac_f32_e32 v39, v38, v39
	v_rcp_f32_e32 v38, v40
	v_fma_f32 v24, -v34, v41, v27
	s_mov_b32 vcc_lo, s0
	s_delay_alu instid0(VALU_DEP_2)
	v_mul_f32_e32 v25, v42, v39
	v_div_fmas_f32 v10, v22, v31, v10
	v_fma_f32 v22, -v33, v29, v36
	v_fmac_f32_e32 v41, v24, v37
	s_mov_b32 vcc_lo, s1
	v_fma_f32 v24, -v26, v25, v42
	s_delay_alu instid0(TRANS32_DEP_1)
	v_fma_f32 v28, -v40, v38, 1.0
	v_div_fmas_f32 v22, v22, v35, v29
	v_fma_f32 v27, -v34, v41, v27
	s_mov_b32 vcc_lo, s2
	v_fmac_f32_e32 v25, v24, v39
	v_fmac_f32_e32 v38, v28, v38
	v_div_scale_f32 v28, s0, v17, v8, v17
	v_div_fmas_f32 v24, v27, v37, v41
	s_delay_alu instid0(VALU_DEP_4) | instskip(SKIP_1) | instid1(VALU_DEP_3)
	v_fma_f32 v3, -v26, v25, v42
	s_mov_b32 vcc_lo, s3
	v_mul_f32_e32 v29, v28, v38
	v_div_fixup_f32 v4, v10, v21, v4
	v_div_fixup_f32 v11, v24, v30, v20
	v_div_fmas_f32 v3, v3, v39, v25
	s_mov_b32 vcc_lo, s0
	v_fma_f32 v27, -v40, v29, v28
	v_add_f32_e32 v4, v7, v4
	v_add_f32_e32 v2, v2, v11
	v_div_fixup_f32 v3, v3, v21, v12
	v_div_fixup_f32 v12, v19, v8, v13
	v_fmac_f32_e32 v29, v27, v38
	v_div_fixup_f32 v7, v22, v8, v16
	s_delay_alu instid0(VALU_DEP_4) | instskip(NEXT) | instid1(VALU_DEP_4)
	v_dual_add_f32 v11, v6, v23 :: v_dual_add_f32 v2, v3, v2
	v_add_f32_e32 v12, v15, v12
	s_delay_alu instid0(VALU_DEP_4) | instskip(NEXT) | instid1(VALU_DEP_4)
	v_fma_f32 v10, -v40, v29, v28
	v_add_f32_e32 v13, v7, v4
	s_delay_alu instid0(VALU_DEP_2) | instskip(SKIP_1) | instid1(VALU_DEP_2)
	v_div_fmas_f32 v10, v10, v38, v29
	v_cmp_lt_f32_e32 vcc_lo, v5, v14
	v_div_fixup_f32 v3, v10, v8, v17
	v_cndmask_b32_e32 v10, v5, v14, vcc_lo
	s_delay_alu instid0(VALU_DEP_2)
	v_add_f32_e32 v14, v3, v2
.LBB34_99:
	s_or_b32 exec_lo, exec_lo, s4
	s_branch .LBB34_127
.LBB34_100:
                                        ; implicit-def: $vgpr7
                                        ; implicit-def: $vgpr4
                                        ; implicit-def: $sgpr20_sgpr21
.LBB34_101:
	s_and_saveexec_b32 s0, s19
	s_cbranch_execnz .LBB34_132
.LBB34_102:
	s_endpgm
.LBB34_103:
                                        ; implicit-def: $vgpr8
                                        ; implicit-def: $vgpr10
                                        ; implicit-def: $vgpr12
                                        ; implicit-def: $vgpr14
	s_cbranch_execz .LBB34_127
; %bb.104:
	s_sub_i32 s0, s8, s24
	s_mov_b32 s1, exec_lo
                                        ; implicit-def: $vgpr11
	v_cmpx_gt_u32_e64 s0, v0
	s_cbranch_execz .LBB34_106
; %bb.105:
	s_lshl_b64 s[2:3], s[24:25], 2
	v_lshlrev_b32_e32 v2, 2, v0
	s_add_u32 s2, s22, s2
	s_addc_u32 s3, s23, s3
	global_load_b32 v11, v2, s[2:3]
.LBB34_106:
	s_or_b32 exec_lo, exec_lo, s1
	v_cmp_ne_u32_e32 vcc_lo, 31, v1
	v_dual_mov_b32 v8, 1.0 :: v_dual_mov_b32 v13, 0
	s_waitcnt vmcnt(0)
	v_dual_mov_b32 v14, 0 :: v_dual_mov_b32 v17, v11
	v_add_co_ci_u32_e32 v2, vcc_lo, 0, v1, vcc_lo
	s_waitcnt lgkmcnt(0)
	v_and_b32_e32 v4, 0xe0, v0
	s_min_u32 s4, s0, 0x100
	v_mov_b32_e32 v12, 0
	v_dual_mov_b32 v9, v11 :: v_dual_lshlrev_b32 v2, 2, v2
	v_mov_b32_e32 v10, v11
	v_mov_b32_e32 v6, 0
	;; [unrolled: 1-line block ×3, first 2 shown]
	ds_bpermute_b32 v7, v2, v8
	ds_bpermute_b32 v3, v2, v11
	;; [unrolled: 1-line block ×3, first 2 shown]
	v_sub_nc_u32_e64 v2, s4, v4 clamp
	v_add_nc_u32_e32 v4, 1, v1
	s_delay_alu instid0(VALU_DEP_1)
	v_cmp_lt_u32_e32 vcc_lo, v4, v2
	v_mov_b32_e32 v4, 0
	s_and_saveexec_b32 s5, vcc_lo
	s_cbranch_execz .LBB34_108
; %bb.107:
	s_waitcnt lgkmcnt(1)
	v_sub_f32_e32 v4, v3, v11
	v_add_f32_e32 v8, 1.0, v7
	s_waitcnt lgkmcnt(0)
	v_dual_add_f32 v10, 0, v5 :: v_dual_sub_f32 v13, 1.0, v7
	s_delay_alu instid0(VALU_DEP_3) | instskip(SKIP_1) | instid1(VALU_DEP_2)
	v_dual_fmamk_f32 v15, v7, 0x80000000, v5 :: v_dual_mul_f32 v6, v4, v7
	v_mul_f32_e32 v19, v7, v7
	v_div_scale_f32 v12, null, v8, v8, v6
	s_delay_alu instid0(VALU_DEP_2) | instskip(NEXT) | instid1(VALU_DEP_2)
	v_fmac_f32_e32 v5, 0, v19
	v_rcp_f32_e32 v17, v12
	s_waitcnt_depctr 0xfff
	v_fma_f32 v25, -v12, v17, 1.0
	s_delay_alu instid0(VALU_DEP_1) | instskip(SKIP_4) | instid1(VALU_DEP_4)
	v_fmac_f32_e32 v17, v25, v17
	v_mul_f32_e32 v9, v4, v4
	v_mul_f32_e32 v21, 0x40400000, v4
	;; [unrolled: 1-line block ×3, first 2 shown]
	v_div_scale_f32 v24, vcc_lo, v6, v8, v6
	v_mul_f32_e32 v14, v9, v7
	s_delay_alu instid0(VALU_DEP_4) | instskip(NEXT) | instid1(VALU_DEP_2)
	v_dual_mul_f32 v16, v4, v9 :: v_dual_mul_f32 v21, v21, v15
	v_div_scale_f32 v18, null, v8, v8, v14
	s_delay_alu instid0(VALU_DEP_2) | instskip(SKIP_1) | instid1(VALU_DEP_3)
	v_mul_f32_e32 v22, v16, v7
	v_div_scale_f32 v26, s0, v14, v8, v14
	v_rcp_f32_e32 v23, v18
	v_div_scale_f32 v28, null, v8, v8, v21
	s_delay_alu instid0(VALU_DEP_3) | instskip(NEXT) | instid1(VALU_DEP_2)
	v_mul_f32_e32 v22, v13, v22
	v_rcp_f32_e32 v31, v28
	s_waitcnt_depctr 0xfff
	v_fma_f32 v25, -v18, v23, 1.0
	s_delay_alu instid0(VALU_DEP_1) | instskip(SKIP_2) | instid1(VALU_DEP_3)
	v_dual_mul_f32 v30, v24, v17 :: v_dual_fmac_f32 v23, v25, v23
	v_mul_f32_e32 v25, v8, v20
	v_div_scale_f32 v27, null, v20, v20, v22
	v_dual_mul_f32 v16, v4, v16 :: v_dual_mul_f32 v33, v26, v23
	s_delay_alu instid0(VALU_DEP_4) | instskip(NEXT) | instid1(VALU_DEP_3)
	v_fma_f32 v32, -v12, v30, v24
	v_rcp_f32_e32 v29, v27
	v_fmac_f32_e32 v13, v7, v7
	s_delay_alu instid0(VALU_DEP_3) | instskip(SKIP_4) | instid1(TRANS32_DEP_1)
	v_mul_f32_e32 v16, v16, v7
	v_div_scale_f32 v34, s1, v22, v20, v22
	v_fmac_f32_e32 v30, v32, v17
	v_fma_f32 v32, -v18, v33, v26
	v_dual_mul_f32 v4, 4.0, v4 :: v_dual_mul_f32 v9, 0x40c00000, v9
	v_fma_f32 v7, -v27, v29, 1.0
	s_delay_alu instid0(VALU_DEP_3) | instskip(NEXT) | instid1(VALU_DEP_2)
	v_fmac_f32_e32 v33, v32, v23
	v_dual_mul_f32 v4, v4, v15 :: v_dual_fmac_f32 v29, v7, v29
	v_fma_f32 v7, -v12, v30, v24
	s_delay_alu instid0(VALU_DEP_3) | instskip(SKIP_2) | instid1(VALU_DEP_4)
	v_fma_f32 v18, -v18, v33, v26
	v_mul_f32_e32 v13, v13, v16
	v_fma_f32 v16, -v28, v31, 1.0
	v_div_fmas_f32 v7, v7, v17, v30
	s_mov_b32 vcc_lo, s0
	s_delay_alu instid0(VALU_DEP_3) | instskip(SKIP_3) | instid1(VALU_DEP_3)
	v_div_scale_f32 v12, null, v25, v25, v13
	v_div_fmas_f32 v18, v18, v23, v33
	s_mov_b32 vcc_lo, s1
	v_div_scale_f32 v15, s3, v13, v25, v13
	v_rcp_f32_e32 v17, v12
	s_delay_alu instid0(VALU_DEP_2)
	v_div_fixup_f32 v14, v18, v8, v14
	v_fmac_f32_e32 v31, v16, v31
	v_mul_f32_e32 v5, v5, v9
	v_div_scale_f32 v9, s2, v21, v8, v21
	v_mul_f32_e32 v19, v34, v29
	v_div_fixup_f32 v6, v7, v8, v6
	s_delay_alu instid0(VALU_DEP_3) | instskip(NEXT) | instid1(TRANS32_DEP_1)
	v_mul_f32_e32 v30, v9, v31
	v_fma_f32 v24, -v12, v17, 1.0
	s_delay_alu instid0(VALU_DEP_4) | instskip(NEXT) | instid1(VALU_DEP_1)
	v_fma_f32 v26, -v27, v19, v34
	v_fmac_f32_e32 v19, v26, v29
	s_delay_alu instid0(VALU_DEP_4) | instskip(NEXT) | instid1(VALU_DEP_2)
	v_fma_f32 v26, -v28, v30, v9
	v_fma_f32 v23, -v27, v19, v34
	s_delay_alu instid0(VALU_DEP_2) | instskip(SKIP_2) | instid1(VALU_DEP_4)
	v_fmac_f32_e32 v30, v26, v31
	v_div_scale_f32 v16, null, v20, v20, v5
	v_div_scale_f32 v27, s0, v5, v20, v5
	v_div_fmas_f32 v19, v23, v29, v19
	s_delay_alu instid0(VALU_DEP_3) | instskip(SKIP_2) | instid1(VALU_DEP_2)
	v_rcp_f32_e32 v32, v16
	v_fma_f32 v9, -v28, v30, v9
	s_mov_b32 vcc_lo, s2
	v_div_fixup_f32 v19, v19, v20, v22
	v_fmac_f32_e32 v17, v24, v17
	v_div_scale_f32 v24, null, v8, v8, v4
	v_div_fmas_f32 v28, v9, v31, v30
	s_mov_b32 vcc_lo, s3
	s_delay_alu instid0(VALU_DEP_3) | instskip(NEXT) | instid1(VALU_DEP_3)
	v_mul_f32_e32 v35, v15, v17
	v_rcp_f32_e32 v37, v24
	v_fma_f32 v36, -v16, v32, 1.0
	s_delay_alu instid0(VALU_DEP_2) | instskip(NEXT) | instid1(VALU_DEP_1)
	v_fma_f32 v26, -v12, v35, v15
	v_dual_fmac_f32 v32, v36, v32 :: v_dual_fmac_f32 v35, v26, v17
	s_waitcnt_depctr 0xfff
	v_fma_f32 v33, -v24, v37, 1.0
	v_mul_f32_e32 v23, v27, v32
	v_div_scale_f32 v26, s1, v4, v8, v4
	v_fma_f32 v9, -v12, v35, v15
	s_delay_alu instid0(VALU_DEP_4) | instskip(NEXT) | instid1(VALU_DEP_4)
	v_fmac_f32_e32 v37, v33, v37
	v_fma_f32 v12, -v16, v23, v27
	s_delay_alu instid0(VALU_DEP_3) | instskip(NEXT) | instid1(VALU_DEP_3)
	v_div_fmas_f32 v17, v9, v17, v35
	v_mul_f32_e32 v15, v26, v37
	s_delay_alu instid0(VALU_DEP_3) | instskip(SKIP_1) | instid1(VALU_DEP_4)
	v_fmac_f32_e32 v23, v12, v32
	v_cmp_gt_f32_e32 vcc_lo, v11, v3
	v_div_fixup_f32 v13, v17, v25, v13
	s_delay_alu instid0(VALU_DEP_4) | instskip(NEXT) | instid1(VALU_DEP_4)
	v_fma_f32 v12, -v24, v15, v26
	v_fma_f32 v16, -v16, v23, v27
	v_cndmask_b32_e32 v9, v11, v3, vcc_lo
	s_mov_b32 vcc_lo, s0
	v_add_f32_e32 v13, v10, v13
	v_fmac_f32_e32 v15, v12, v37
	v_div_fmas_f32 v12, v16, v32, v23
	s_mov_b32 vcc_lo, s1
	v_add_f32_e32 v16, v10, v19
	s_delay_alu instid0(VALU_DEP_3) | instskip(NEXT) | instid1(VALU_DEP_3)
	v_fma_f32 v17, -v24, v15, v26
	v_div_fixup_f32 v5, v12, v20, v5
	v_add_f32_e32 v12, v10, v14
	s_delay_alu instid0(VALU_DEP_3) | instskip(SKIP_3) | instid1(VALU_DEP_4)
	v_div_fmas_f32 v15, v17, v37, v15
	v_div_fixup_f32 v17, v28, v8, v21
	v_cmp_lt_f32_e32 vcc_lo, v11, v3
	v_add_f32_e32 v5, v5, v13
	v_div_fixup_f32 v4, v15, v8, v4
	s_delay_alu instid0(VALU_DEP_4) | instskip(SKIP_1) | instid1(VALU_DEP_3)
	v_dual_add_f32 v13, v17, v16 :: v_dual_cndmask_b32 v10, v11, v3
	v_add_f32_e32 v11, v11, v6
	v_dual_mov_b32 v17, v9 :: v_dual_add_f32 v14, v4, v5
	s_delay_alu instid0(VALU_DEP_3) | instskip(NEXT) | instid1(VALU_DEP_4)
	v_mov_b32_e32 v6, v13
	v_mov_b32_e32 v16, v10
	;; [unrolled: 1-line block ×3, first 2 shown]
.LBB34_108:
	s_or_b32 exec_lo, exec_lo, s5
	v_cmp_gt_u32_e32 vcc_lo, 30, v1
	v_add_nc_u32_e32 v21, 2, v1
	s_mov_b32 s5, exec_lo
	s_waitcnt lgkmcnt(1)
	v_cndmask_b32_e64 v3, 0, 1, vcc_lo
	s_delay_alu instid0(VALU_DEP_1) | instskip(SKIP_1) | instid1(VALU_DEP_1)
	v_lshlrev_b32_e32 v3, 1, v3
	s_waitcnt lgkmcnt(0)
	v_add_lshl_u32 v5, v3, v1, 2
	ds_bpermute_b32 v15, v5, v8
	ds_bpermute_b32 v19, v5, v17
	;; [unrolled: 1-line block ×7, first 2 shown]
	v_cmpx_lt_u32_e64 v21, v2
	s_cbranch_execz .LBB34_110
; %bb.109:
	s_waitcnt lgkmcnt(3)
	v_sub_f32_e32 v4, v20, v11
	v_cmp_gt_f32_e32 vcc_lo, v9, v19
	v_mul_f32_e32 v24, v8, v8
	s_waitcnt lgkmcnt(0)
	v_dual_add_f32 v16, v8, v15 :: v_dual_add_f32 v5, v14, v5
	v_mul_f32_e32 v17, v4, v15
	v_dual_cndmask_b32 v9, v9, v19 :: v_dual_add_f32 v6, v12, v18
	v_mul_f32_e32 v19, v4, v4
	v_fma_f32 v31, -v8, v15, v24
	s_delay_alu instid0(VALU_DEP_4) | instskip(SKIP_2) | instid1(VALU_DEP_4)
	v_div_scale_f32 v22, null, v16, v16, v17
	v_sub_f32_e32 v20, v8, v15
	v_div_scale_f32 v35, vcc_lo, v17, v16, v17
	v_fmac_f32_e32 v31, v15, v15
	v_mul_f32_e32 v23, v8, v19
	v_rcp_f32_e32 v27, v22
	s_delay_alu instid0(VALU_DEP_1) | instskip(NEXT) | instid1(VALU_DEP_1)
	v_mul_f32_e32 v23, v23, v15
	v_div_scale_f32 v30, null, v16, v16, v23
	s_waitcnt_depctr 0xfff
	v_fma_f32 v33, -v22, v27, 1.0
	v_div_scale_f32 v36, s0, v23, v16, v23
	v_rcp_f32_e32 v34, v30
	s_delay_alu instid0(VALU_DEP_2) | instskip(SKIP_2) | instid1(VALU_DEP_1)
	v_fmac_f32_e32 v27, v33, v27
	s_waitcnt_depctr 0xfff
	v_fma_f32 v33, -v30, v34, 1.0
	v_fmac_f32_e32 v34, v33, v34
	v_mul_f32_e32 v26, v4, v19
	s_delay_alu instid0(VALU_DEP_1) | instskip(NEXT) | instid1(VALU_DEP_1)
	v_mul_f32_e32 v29, v8, v26
	v_dual_mul_f32 v26, v4, v26 :: v_dual_mul_f32 v29, v29, v15
	s_delay_alu instid0(VALU_DEP_1) | instskip(SKIP_1) | instid1(VALU_DEP_3)
	v_mul_f32_e32 v26, v8, v26
	v_mul_f32_e32 v25, v16, v16
	v_dual_mul_f32 v20, v20, v29 :: v_dual_mul_f32 v29, v35, v27
	s_delay_alu instid0(VALU_DEP_3) | instskip(NEXT) | instid1(VALU_DEP_3)
	v_mul_f32_e32 v26, v26, v15
	v_mul_f32_e32 v32, v16, v25
	s_delay_alu instid0(VALU_DEP_3) | instskip(NEXT) | instid1(VALU_DEP_1)
	v_fma_f32 v38, -v22, v29, v35
	v_dual_fmac_f32 v29, v38, v27 :: v_dual_mul_f32 v38, v36, v34
	s_delay_alu instid0(VALU_DEP_1) | instskip(NEXT) | instid1(VALU_DEP_1)
	v_fma_f32 v22, -v22, v29, v35
	v_div_fmas_f32 v22, v22, v27, v29
	v_mul_f32_e32 v27, v15, v15
	s_delay_alu instid0(VALU_DEP_4) | instskip(SKIP_3) | instid1(VALU_DEP_3)
	v_fma_f32 v35, -v30, v38, v36
	v_mul_f32_e32 v21, v12, v15
	v_mul_f32_e32 v15, v13, v15
	s_mov_b32 vcc_lo, s0
	v_fmac_f32_e32 v38, v35, v34
	s_delay_alu instid0(VALU_DEP_3) | instskip(SKIP_4) | instid1(VALU_DEP_4)
	v_fma_f32 v21, v8, v18, -v21
	v_mul_f32_e32 v18, v24, v18
	v_mul_f32_e32 v26, v31, v26
	v_fma_f32 v8, v8, v7, -v15
	v_add_f32_e32 v7, v13, v7
	v_fmac_f32_e32 v18, v12, v27
	s_delay_alu instid0(VALU_DEP_4) | instskip(SKIP_2) | instid1(VALU_DEP_3)
	v_div_scale_f32 v24, null, v32, v32, v26
	v_div_scale_f32 v12, s1, v20, v25, v20
	v_mul_f32_e32 v19, 0x40c00000, v19
	v_rcp_f32_e32 v29, v24
	s_delay_alu instid0(VALU_DEP_1)
	v_mul_f32_e32 v18, v19, v18
	v_fma_f32 v19, -v30, v38, v36
	v_div_scale_f32 v36, s0, v26, v32, v26
	s_waitcnt_depctr 0xfff
	v_fma_f32 v35, -v24, v29, 1.0
	v_div_fmas_f32 v19, v19, v34, v38
	s_mov_b32 vcc_lo, s1
	s_delay_alu instid0(VALU_DEP_2) | instskip(SKIP_2) | instid1(VALU_DEP_3)
	v_dual_fmac_f32 v29, v35, v29 :: v_dual_mul_f32 v28, 0x40400000, v4
	v_mul_f32_e32 v4, 4.0, v4
	v_div_fixup_f32 v17, v22, v16, v17
	v_mul_f32_e32 v41, v36, v29
	s_delay_alu instid0(VALU_DEP_4) | instskip(SKIP_1) | instid1(VALU_DEP_4)
	v_mul_f32_e32 v21, v28, v21
	v_div_scale_f32 v28, null, v25, v25, v20
	v_dual_mul_f32 v8, v4, v8 :: v_dual_add_f32 v11, v11, v17
	s_delay_alu instid0(VALU_DEP_3) | instskip(NEXT) | instid1(VALU_DEP_3)
	v_div_scale_f32 v33, null, v16, v16, v21
	v_rcp_f32_e32 v37, v28
	v_div_scale_f32 v31, s2, v21, v16, v21
	s_delay_alu instid0(VALU_DEP_2)
	v_rcp_f32_e32 v39, v33
	v_div_scale_f32 v35, null, v16, v16, v8
	v_mov_b32_e32 v17, v9
	s_waitcnt_depctr 0xfff
	v_fma_f32 v40, -v28, v37, 1.0
	v_fma_f32 v27, -v33, v39, 1.0
	s_delay_alu instid0(VALU_DEP_1) | instskip(NEXT) | instid1(VALU_DEP_3)
	v_fmac_f32_e32 v39, v27, v39
	v_fmac_f32_e32 v37, v40, v37
	v_div_scale_f32 v27, null, v25, v25, v18
	v_rcp_f32_e32 v40, v35
	s_delay_alu instid0(VALU_DEP_3) | instskip(NEXT) | instid1(VALU_DEP_3)
	v_mul_f32_e32 v34, v31, v39
	v_mul_f32_e32 v30, v12, v37
	s_delay_alu instid0(VALU_DEP_3) | instskip(NEXT) | instid1(VALU_DEP_1)
	v_rcp_f32_e32 v15, v27
	v_fma_f32 v4, -v28, v30, v12
	s_delay_alu instid0(VALU_DEP_1)
	v_fmac_f32_e32 v30, v4, v37
	s_waitcnt_depctr 0xfff
	v_fma_f32 v38, -v27, v15, 1.0
	v_fma_f32 v4, -v33, v34, v31
	v_fma_f32 v12, -v28, v30, v12
	v_fma_f32 v28, -v35, v40, 1.0
	s_delay_alu instid0(VALU_DEP_4) | instskip(SKIP_1) | instid1(VALU_DEP_4)
	v_fmac_f32_e32 v15, v38, v15
	v_div_scale_f32 v38, s3, v18, v25, v18
	v_div_fmas_f32 v12, v12, v37, v30
	s_delay_alu instid0(VALU_DEP_4)
	v_fmac_f32_e32 v40, v28, v40
	v_fmac_f32_e32 v34, v4, v39
	v_fma_f32 v4, -v24, v41, v36
	v_mul_f32_e32 v13, v38, v15
	v_div_fixup_f32 v12, v12, v25, v20
	v_div_scale_f32 v28, s1, v8, v16, v8
	v_fma_f32 v30, -v33, v34, v31
	s_mov_b32 vcc_lo, s2
	s_delay_alu instid0(VALU_DEP_3)
	v_add_f32_e32 v7, v7, v12
	v_fmac_f32_e32 v41, v4, v29
	v_fma_f32 v4, -v27, v13, v38
	v_mul_f32_e32 v31, v28, v40
	v_div_fmas_f32 v30, v30, v39, v34
	s_mov_b32 vcc_lo, s0
	v_fma_f32 v24, -v24, v41, v36
	v_fmac_f32_e32 v13, v4, v15
	s_delay_alu instid0(VALU_DEP_2) | instskip(SKIP_1) | instid1(VALU_DEP_3)
	v_div_fmas_f32 v4, v24, v29, v41
	v_fma_f32 v24, -v35, v31, v28
	v_fma_f32 v14, -v27, v13, v38
	s_mov_b32 vcc_lo, s3
	s_delay_alu instid0(VALU_DEP_3) | instskip(NEXT) | instid1(VALU_DEP_3)
	v_div_fixup_f32 v4, v4, v32, v26
	v_fmac_f32_e32 v31, v24, v40
	s_delay_alu instid0(VALU_DEP_3)
	v_div_fmas_f32 v13, v14, v15, v13
	s_mov_b32 vcc_lo, s1
	v_div_fixup_f32 v14, v19, v16, v23
	v_add_f32_e32 v5, v5, v4
	v_fma_f32 v12, -v35, v31, v28
	v_div_fixup_f32 v13, v13, v25, v18
	v_div_fixup_f32 v15, v30, v16, v21
	v_add_f32_e32 v4, v6, v14
	s_delay_alu instid0(VALU_DEP_4) | instskip(SKIP_1) | instid1(VALU_DEP_4)
	v_div_fmas_f32 v12, v12, v40, v31
	v_cmp_lt_f32_e32 vcc_lo, v10, v3
	v_dual_add_f32 v5, v13, v5 :: v_dual_add_f32 v6, v15, v7
	s_delay_alu instid0(VALU_DEP_3) | instskip(SKIP_1) | instid1(VALU_DEP_3)
	v_div_fixup_f32 v8, v12, v16, v8
	v_cndmask_b32_e32 v10, v10, v3, vcc_lo
	v_dual_mov_b32 v12, v4 :: v_dual_mov_b32 v13, v6
	s_delay_alu instid0(VALU_DEP_3) | instskip(SKIP_1) | instid1(VALU_DEP_4)
	v_add_f32_e32 v14, v8, v5
	v_mov_b32_e32 v8, v16
	v_mov_b32_e32 v16, v10
.LBB34_110:
	s_or_b32 exec_lo, exec_lo, s5
	v_cmp_gt_u32_e32 vcc_lo, 28, v1
	v_add_nc_u32_e32 v21, 4, v1
	s_mov_b32 s5, exec_lo
	s_waitcnt lgkmcnt(4)
	v_cndmask_b32_e64 v3, 0, 1, vcc_lo
	s_delay_alu instid0(VALU_DEP_1) | instskip(SKIP_1) | instid1(VALU_DEP_1)
	v_lshlrev_b32_e32 v3, 2, v3
	s_waitcnt lgkmcnt(0)
	v_add_lshl_u32 v5, v3, v1, 2
	ds_bpermute_b32 v15, v5, v8
	ds_bpermute_b32 v19, v5, v17
	;; [unrolled: 1-line block ×7, first 2 shown]
	v_cmpx_lt_u32_e64 v21, v2
	s_cbranch_execz .LBB34_112
; %bb.111:
	s_waitcnt lgkmcnt(3)
	v_sub_f32_e32 v4, v20, v11
	v_cmp_gt_f32_e32 vcc_lo, v9, v19
	v_mul_f32_e32 v24, v8, v8
	s_waitcnt lgkmcnt(0)
	v_dual_add_f32 v16, v8, v15 :: v_dual_add_f32 v5, v14, v5
	v_mul_f32_e32 v17, v4, v15
	v_dual_cndmask_b32 v9, v9, v19 :: v_dual_add_f32 v6, v12, v18
	v_mul_f32_e32 v19, v4, v4
	v_fma_f32 v31, -v8, v15, v24
	s_delay_alu instid0(VALU_DEP_4) | instskip(SKIP_2) | instid1(VALU_DEP_4)
	v_div_scale_f32 v22, null, v16, v16, v17
	v_sub_f32_e32 v20, v8, v15
	v_div_scale_f32 v35, vcc_lo, v17, v16, v17
	v_fmac_f32_e32 v31, v15, v15
	v_mul_f32_e32 v23, v8, v19
	v_rcp_f32_e32 v27, v22
	s_delay_alu instid0(VALU_DEP_1) | instskip(NEXT) | instid1(VALU_DEP_1)
	v_mul_f32_e32 v23, v23, v15
	v_div_scale_f32 v30, null, v16, v16, v23
	s_waitcnt_depctr 0xfff
	v_fma_f32 v33, -v22, v27, 1.0
	v_div_scale_f32 v36, s0, v23, v16, v23
	v_rcp_f32_e32 v34, v30
	s_delay_alu instid0(VALU_DEP_2) | instskip(SKIP_2) | instid1(VALU_DEP_1)
	v_fmac_f32_e32 v27, v33, v27
	s_waitcnt_depctr 0xfff
	v_fma_f32 v33, -v30, v34, 1.0
	v_fmac_f32_e32 v34, v33, v34
	v_mul_f32_e32 v26, v4, v19
	s_delay_alu instid0(VALU_DEP_1) | instskip(NEXT) | instid1(VALU_DEP_1)
	v_mul_f32_e32 v29, v8, v26
	v_dual_mul_f32 v26, v4, v26 :: v_dual_mul_f32 v29, v29, v15
	s_delay_alu instid0(VALU_DEP_1) | instskip(SKIP_1) | instid1(VALU_DEP_3)
	v_mul_f32_e32 v26, v8, v26
	v_mul_f32_e32 v25, v16, v16
	v_dual_mul_f32 v20, v20, v29 :: v_dual_mul_f32 v29, v35, v27
	s_delay_alu instid0(VALU_DEP_3) | instskip(NEXT) | instid1(VALU_DEP_3)
	v_mul_f32_e32 v26, v26, v15
	v_mul_f32_e32 v32, v16, v25
	s_delay_alu instid0(VALU_DEP_3) | instskip(NEXT) | instid1(VALU_DEP_1)
	v_fma_f32 v38, -v22, v29, v35
	v_dual_fmac_f32 v29, v38, v27 :: v_dual_mul_f32 v38, v36, v34
	s_delay_alu instid0(VALU_DEP_1) | instskip(NEXT) | instid1(VALU_DEP_1)
	v_fma_f32 v22, -v22, v29, v35
	v_div_fmas_f32 v22, v22, v27, v29
	v_mul_f32_e32 v27, v15, v15
	s_delay_alu instid0(VALU_DEP_4) | instskip(SKIP_3) | instid1(VALU_DEP_3)
	v_fma_f32 v35, -v30, v38, v36
	v_mul_f32_e32 v21, v12, v15
	v_mul_f32_e32 v15, v13, v15
	s_mov_b32 vcc_lo, s0
	v_fmac_f32_e32 v38, v35, v34
	s_delay_alu instid0(VALU_DEP_3) | instskip(SKIP_4) | instid1(VALU_DEP_4)
	v_fma_f32 v21, v8, v18, -v21
	v_mul_f32_e32 v18, v24, v18
	v_mul_f32_e32 v26, v31, v26
	v_fma_f32 v8, v8, v7, -v15
	v_add_f32_e32 v7, v13, v7
	v_fmac_f32_e32 v18, v12, v27
	s_delay_alu instid0(VALU_DEP_4) | instskip(SKIP_2) | instid1(VALU_DEP_3)
	v_div_scale_f32 v24, null, v32, v32, v26
	v_div_scale_f32 v12, s1, v20, v25, v20
	v_mul_f32_e32 v19, 0x40c00000, v19
	v_rcp_f32_e32 v29, v24
	s_delay_alu instid0(VALU_DEP_1)
	v_mul_f32_e32 v18, v19, v18
	v_fma_f32 v19, -v30, v38, v36
	v_div_scale_f32 v36, s0, v26, v32, v26
	s_waitcnt_depctr 0xfff
	v_fma_f32 v35, -v24, v29, 1.0
	v_div_fmas_f32 v19, v19, v34, v38
	s_mov_b32 vcc_lo, s1
	s_delay_alu instid0(VALU_DEP_2) | instskip(SKIP_2) | instid1(VALU_DEP_3)
	v_dual_fmac_f32 v29, v35, v29 :: v_dual_mul_f32 v28, 0x40400000, v4
	v_mul_f32_e32 v4, 4.0, v4
	v_div_fixup_f32 v17, v22, v16, v17
	v_mul_f32_e32 v41, v36, v29
	s_delay_alu instid0(VALU_DEP_4) | instskip(SKIP_1) | instid1(VALU_DEP_4)
	v_mul_f32_e32 v21, v28, v21
	v_div_scale_f32 v28, null, v25, v25, v20
	v_dual_mul_f32 v8, v4, v8 :: v_dual_add_f32 v11, v11, v17
	s_delay_alu instid0(VALU_DEP_3) | instskip(NEXT) | instid1(VALU_DEP_3)
	v_div_scale_f32 v33, null, v16, v16, v21
	v_rcp_f32_e32 v37, v28
	v_div_scale_f32 v31, s2, v21, v16, v21
	s_delay_alu instid0(VALU_DEP_2)
	v_rcp_f32_e32 v39, v33
	v_div_scale_f32 v35, null, v16, v16, v8
	v_mov_b32_e32 v17, v9
	s_waitcnt_depctr 0xfff
	v_fma_f32 v40, -v28, v37, 1.0
	v_fma_f32 v27, -v33, v39, 1.0
	s_delay_alu instid0(VALU_DEP_1) | instskip(NEXT) | instid1(VALU_DEP_3)
	v_fmac_f32_e32 v39, v27, v39
	v_fmac_f32_e32 v37, v40, v37
	v_div_scale_f32 v27, null, v25, v25, v18
	v_rcp_f32_e32 v40, v35
	s_delay_alu instid0(VALU_DEP_3) | instskip(NEXT) | instid1(VALU_DEP_3)
	v_mul_f32_e32 v34, v31, v39
	v_mul_f32_e32 v30, v12, v37
	s_delay_alu instid0(VALU_DEP_3) | instskip(NEXT) | instid1(VALU_DEP_1)
	v_rcp_f32_e32 v15, v27
	v_fma_f32 v4, -v28, v30, v12
	s_delay_alu instid0(VALU_DEP_1)
	v_fmac_f32_e32 v30, v4, v37
	s_waitcnt_depctr 0xfff
	v_fma_f32 v38, -v27, v15, 1.0
	v_fma_f32 v4, -v33, v34, v31
	v_fma_f32 v12, -v28, v30, v12
	v_fma_f32 v28, -v35, v40, 1.0
	s_delay_alu instid0(VALU_DEP_4) | instskip(SKIP_1) | instid1(VALU_DEP_4)
	v_fmac_f32_e32 v15, v38, v15
	v_div_scale_f32 v38, s3, v18, v25, v18
	v_div_fmas_f32 v12, v12, v37, v30
	s_delay_alu instid0(VALU_DEP_4)
	v_fmac_f32_e32 v40, v28, v40
	v_fmac_f32_e32 v34, v4, v39
	v_fma_f32 v4, -v24, v41, v36
	v_mul_f32_e32 v13, v38, v15
	v_div_fixup_f32 v12, v12, v25, v20
	v_div_scale_f32 v28, s1, v8, v16, v8
	v_fma_f32 v30, -v33, v34, v31
	s_mov_b32 vcc_lo, s2
	s_delay_alu instid0(VALU_DEP_3)
	v_add_f32_e32 v7, v7, v12
	v_fmac_f32_e32 v41, v4, v29
	v_fma_f32 v4, -v27, v13, v38
	v_mul_f32_e32 v31, v28, v40
	v_div_fmas_f32 v30, v30, v39, v34
	s_mov_b32 vcc_lo, s0
	v_fma_f32 v24, -v24, v41, v36
	v_fmac_f32_e32 v13, v4, v15
	s_delay_alu instid0(VALU_DEP_2) | instskip(SKIP_1) | instid1(VALU_DEP_3)
	v_div_fmas_f32 v4, v24, v29, v41
	v_fma_f32 v24, -v35, v31, v28
	v_fma_f32 v14, -v27, v13, v38
	s_mov_b32 vcc_lo, s3
	s_delay_alu instid0(VALU_DEP_3) | instskip(NEXT) | instid1(VALU_DEP_3)
	v_div_fixup_f32 v4, v4, v32, v26
	v_fmac_f32_e32 v31, v24, v40
	s_delay_alu instid0(VALU_DEP_3)
	v_div_fmas_f32 v13, v14, v15, v13
	s_mov_b32 vcc_lo, s1
	v_div_fixup_f32 v14, v19, v16, v23
	v_add_f32_e32 v5, v5, v4
	v_fma_f32 v12, -v35, v31, v28
	v_div_fixup_f32 v13, v13, v25, v18
	v_div_fixup_f32 v15, v30, v16, v21
	v_add_f32_e32 v4, v6, v14
	s_delay_alu instid0(VALU_DEP_4) | instskip(SKIP_1) | instid1(VALU_DEP_4)
	v_div_fmas_f32 v12, v12, v40, v31
	v_cmp_lt_f32_e32 vcc_lo, v10, v3
	v_dual_add_f32 v5, v13, v5 :: v_dual_add_f32 v6, v15, v7
	s_delay_alu instid0(VALU_DEP_3) | instskip(SKIP_1) | instid1(VALU_DEP_3)
	v_div_fixup_f32 v8, v12, v16, v8
	v_cndmask_b32_e32 v10, v10, v3, vcc_lo
	v_dual_mov_b32 v12, v4 :: v_dual_mov_b32 v13, v6
	s_delay_alu instid0(VALU_DEP_3) | instskip(SKIP_1) | instid1(VALU_DEP_4)
	v_add_f32_e32 v14, v8, v5
	v_mov_b32_e32 v8, v16
	v_mov_b32_e32 v16, v10
.LBB34_112:
	s_or_b32 exec_lo, exec_lo, s5
	v_cmp_gt_u32_e32 vcc_lo, 24, v1
	v_add_nc_u32_e32 v21, 8, v1
	s_mov_b32 s5, exec_lo
	s_waitcnt lgkmcnt(4)
	v_cndmask_b32_e64 v3, 0, 1, vcc_lo
	s_delay_alu instid0(VALU_DEP_1) | instskip(SKIP_1) | instid1(VALU_DEP_1)
	v_lshlrev_b32_e32 v3, 3, v3
	s_waitcnt lgkmcnt(0)
	v_add_lshl_u32 v5, v3, v1, 2
	ds_bpermute_b32 v15, v5, v8
	ds_bpermute_b32 v19, v5, v17
	;; [unrolled: 1-line block ×7, first 2 shown]
	v_cmpx_lt_u32_e64 v21, v2
	s_cbranch_execz .LBB34_114
; %bb.113:
	s_waitcnt lgkmcnt(3)
	v_sub_f32_e32 v4, v20, v11
	v_cmp_gt_f32_e32 vcc_lo, v9, v19
	v_mul_f32_e32 v24, v8, v8
	s_waitcnt lgkmcnt(0)
	v_dual_add_f32 v16, v8, v15 :: v_dual_add_f32 v5, v14, v5
	v_mul_f32_e32 v17, v4, v15
	v_dual_cndmask_b32 v9, v9, v19 :: v_dual_add_f32 v6, v12, v18
	v_mul_f32_e32 v19, v4, v4
	v_fma_f32 v31, -v8, v15, v24
	s_delay_alu instid0(VALU_DEP_4) | instskip(SKIP_2) | instid1(VALU_DEP_4)
	v_div_scale_f32 v22, null, v16, v16, v17
	v_sub_f32_e32 v20, v8, v15
	v_div_scale_f32 v35, vcc_lo, v17, v16, v17
	v_fmac_f32_e32 v31, v15, v15
	v_mul_f32_e32 v23, v8, v19
	v_rcp_f32_e32 v27, v22
	s_delay_alu instid0(VALU_DEP_1) | instskip(NEXT) | instid1(VALU_DEP_1)
	v_mul_f32_e32 v23, v23, v15
	v_div_scale_f32 v30, null, v16, v16, v23
	s_waitcnt_depctr 0xfff
	v_fma_f32 v33, -v22, v27, 1.0
	v_div_scale_f32 v36, s0, v23, v16, v23
	v_rcp_f32_e32 v34, v30
	s_delay_alu instid0(VALU_DEP_2) | instskip(SKIP_2) | instid1(VALU_DEP_1)
	v_fmac_f32_e32 v27, v33, v27
	s_waitcnt_depctr 0xfff
	v_fma_f32 v33, -v30, v34, 1.0
	v_fmac_f32_e32 v34, v33, v34
	v_mul_f32_e32 v26, v4, v19
	s_delay_alu instid0(VALU_DEP_1) | instskip(NEXT) | instid1(VALU_DEP_1)
	v_mul_f32_e32 v29, v8, v26
	v_dual_mul_f32 v26, v4, v26 :: v_dual_mul_f32 v29, v29, v15
	s_delay_alu instid0(VALU_DEP_1) | instskip(SKIP_1) | instid1(VALU_DEP_3)
	v_mul_f32_e32 v26, v8, v26
	v_mul_f32_e32 v25, v16, v16
	v_dual_mul_f32 v20, v20, v29 :: v_dual_mul_f32 v29, v35, v27
	s_delay_alu instid0(VALU_DEP_3) | instskip(NEXT) | instid1(VALU_DEP_3)
	v_mul_f32_e32 v26, v26, v15
	v_mul_f32_e32 v32, v16, v25
	s_delay_alu instid0(VALU_DEP_3) | instskip(NEXT) | instid1(VALU_DEP_1)
	v_fma_f32 v38, -v22, v29, v35
	v_dual_fmac_f32 v29, v38, v27 :: v_dual_mul_f32 v38, v36, v34
	s_delay_alu instid0(VALU_DEP_1) | instskip(NEXT) | instid1(VALU_DEP_1)
	v_fma_f32 v22, -v22, v29, v35
	v_div_fmas_f32 v22, v22, v27, v29
	v_mul_f32_e32 v27, v15, v15
	s_delay_alu instid0(VALU_DEP_4) | instskip(SKIP_3) | instid1(VALU_DEP_3)
	v_fma_f32 v35, -v30, v38, v36
	v_mul_f32_e32 v21, v12, v15
	v_mul_f32_e32 v15, v13, v15
	s_mov_b32 vcc_lo, s0
	v_fmac_f32_e32 v38, v35, v34
	s_delay_alu instid0(VALU_DEP_3) | instskip(SKIP_4) | instid1(VALU_DEP_4)
	v_fma_f32 v21, v8, v18, -v21
	v_mul_f32_e32 v18, v24, v18
	v_mul_f32_e32 v26, v31, v26
	v_fma_f32 v8, v8, v7, -v15
	v_add_f32_e32 v7, v13, v7
	v_fmac_f32_e32 v18, v12, v27
	s_delay_alu instid0(VALU_DEP_4) | instskip(SKIP_2) | instid1(VALU_DEP_3)
	v_div_scale_f32 v24, null, v32, v32, v26
	v_div_scale_f32 v12, s1, v20, v25, v20
	v_mul_f32_e32 v19, 0x40c00000, v19
	v_rcp_f32_e32 v29, v24
	s_delay_alu instid0(VALU_DEP_1)
	v_mul_f32_e32 v18, v19, v18
	v_fma_f32 v19, -v30, v38, v36
	v_div_scale_f32 v36, s0, v26, v32, v26
	s_waitcnt_depctr 0xfff
	v_fma_f32 v35, -v24, v29, 1.0
	v_div_fmas_f32 v19, v19, v34, v38
	s_mov_b32 vcc_lo, s1
	s_delay_alu instid0(VALU_DEP_2) | instskip(SKIP_2) | instid1(VALU_DEP_3)
	v_dual_fmac_f32 v29, v35, v29 :: v_dual_mul_f32 v28, 0x40400000, v4
	v_mul_f32_e32 v4, 4.0, v4
	v_div_fixup_f32 v17, v22, v16, v17
	v_mul_f32_e32 v41, v36, v29
	s_delay_alu instid0(VALU_DEP_4) | instskip(SKIP_1) | instid1(VALU_DEP_4)
	v_mul_f32_e32 v21, v28, v21
	v_div_scale_f32 v28, null, v25, v25, v20
	v_dual_mul_f32 v8, v4, v8 :: v_dual_add_f32 v11, v11, v17
	s_delay_alu instid0(VALU_DEP_3) | instskip(NEXT) | instid1(VALU_DEP_3)
	v_div_scale_f32 v33, null, v16, v16, v21
	v_rcp_f32_e32 v37, v28
	v_div_scale_f32 v31, s2, v21, v16, v21
	s_delay_alu instid0(VALU_DEP_2)
	v_rcp_f32_e32 v39, v33
	v_div_scale_f32 v35, null, v16, v16, v8
	v_mov_b32_e32 v17, v9
	s_waitcnt_depctr 0xfff
	v_fma_f32 v40, -v28, v37, 1.0
	v_fma_f32 v27, -v33, v39, 1.0
	s_delay_alu instid0(VALU_DEP_1) | instskip(NEXT) | instid1(VALU_DEP_3)
	v_fmac_f32_e32 v39, v27, v39
	v_fmac_f32_e32 v37, v40, v37
	v_div_scale_f32 v27, null, v25, v25, v18
	v_rcp_f32_e32 v40, v35
	s_delay_alu instid0(VALU_DEP_3) | instskip(NEXT) | instid1(VALU_DEP_3)
	v_mul_f32_e32 v34, v31, v39
	v_mul_f32_e32 v30, v12, v37
	s_delay_alu instid0(VALU_DEP_3) | instskip(NEXT) | instid1(VALU_DEP_1)
	v_rcp_f32_e32 v15, v27
	v_fma_f32 v4, -v28, v30, v12
	s_delay_alu instid0(VALU_DEP_1)
	v_fmac_f32_e32 v30, v4, v37
	s_waitcnt_depctr 0xfff
	v_fma_f32 v38, -v27, v15, 1.0
	v_fma_f32 v4, -v33, v34, v31
	v_fma_f32 v12, -v28, v30, v12
	v_fma_f32 v28, -v35, v40, 1.0
	s_delay_alu instid0(VALU_DEP_4) | instskip(SKIP_1) | instid1(VALU_DEP_4)
	v_fmac_f32_e32 v15, v38, v15
	v_div_scale_f32 v38, s3, v18, v25, v18
	v_div_fmas_f32 v12, v12, v37, v30
	s_delay_alu instid0(VALU_DEP_4)
	v_fmac_f32_e32 v40, v28, v40
	v_fmac_f32_e32 v34, v4, v39
	v_fma_f32 v4, -v24, v41, v36
	v_mul_f32_e32 v13, v38, v15
	v_div_fixup_f32 v12, v12, v25, v20
	v_div_scale_f32 v28, s1, v8, v16, v8
	v_fma_f32 v30, -v33, v34, v31
	s_mov_b32 vcc_lo, s2
	s_delay_alu instid0(VALU_DEP_3)
	v_add_f32_e32 v7, v7, v12
	v_fmac_f32_e32 v41, v4, v29
	v_fma_f32 v4, -v27, v13, v38
	v_mul_f32_e32 v31, v28, v40
	v_div_fmas_f32 v30, v30, v39, v34
	s_mov_b32 vcc_lo, s0
	v_fma_f32 v24, -v24, v41, v36
	v_fmac_f32_e32 v13, v4, v15
	s_delay_alu instid0(VALU_DEP_2) | instskip(SKIP_1) | instid1(VALU_DEP_3)
	v_div_fmas_f32 v4, v24, v29, v41
	v_fma_f32 v24, -v35, v31, v28
	v_fma_f32 v14, -v27, v13, v38
	s_mov_b32 vcc_lo, s3
	s_delay_alu instid0(VALU_DEP_3) | instskip(NEXT) | instid1(VALU_DEP_3)
	v_div_fixup_f32 v4, v4, v32, v26
	v_fmac_f32_e32 v31, v24, v40
	s_delay_alu instid0(VALU_DEP_3)
	v_div_fmas_f32 v13, v14, v15, v13
	s_mov_b32 vcc_lo, s1
	v_div_fixup_f32 v14, v19, v16, v23
	v_add_f32_e32 v5, v5, v4
	v_fma_f32 v12, -v35, v31, v28
	v_div_fixup_f32 v13, v13, v25, v18
	v_div_fixup_f32 v15, v30, v16, v21
	v_add_f32_e32 v4, v6, v14
	s_delay_alu instid0(VALU_DEP_4) | instskip(SKIP_1) | instid1(VALU_DEP_4)
	v_div_fmas_f32 v12, v12, v40, v31
	v_cmp_lt_f32_e32 vcc_lo, v10, v3
	v_dual_add_f32 v5, v13, v5 :: v_dual_add_f32 v6, v15, v7
	s_delay_alu instid0(VALU_DEP_3) | instskip(SKIP_1) | instid1(VALU_DEP_3)
	v_div_fixup_f32 v8, v12, v16, v8
	v_cndmask_b32_e32 v10, v10, v3, vcc_lo
	v_dual_mov_b32 v12, v4 :: v_dual_mov_b32 v13, v6
	s_delay_alu instid0(VALU_DEP_3) | instskip(SKIP_1) | instid1(VALU_DEP_4)
	v_add_f32_e32 v14, v8, v5
	v_mov_b32_e32 v8, v16
	v_mov_b32_e32 v16, v10
.LBB34_114:
	s_or_b32 exec_lo, exec_lo, s5
	v_cmp_gt_u32_e32 vcc_lo, 16, v1
	s_mov_b32 s5, exec_lo
	s_waitcnt lgkmcnt(4)
	v_cndmask_b32_e64 v3, 0, 1, vcc_lo
	s_delay_alu instid0(VALU_DEP_1) | instskip(SKIP_1) | instid1(VALU_DEP_1)
	v_lshlrev_b32_e32 v3, 4, v3
	s_waitcnt lgkmcnt(2)
	v_add_lshl_u32 v18, v3, v1, 2
	s_waitcnt lgkmcnt(1)
	ds_bpermute_b32 v7, v18, v8
	ds_bpermute_b32 v17, v18, v17
	;; [unrolled: 1-line block ×5, first 2 shown]
	s_waitcnt lgkmcnt(5)
	ds_bpermute_b32 v5, v18, v6
	ds_bpermute_b32 v4, v18, v14
	v_add_nc_u32_e32 v6, 16, v1
	s_delay_alu instid0(VALU_DEP_1)
	v_cmpx_lt_u32_e64 v6, v2
	s_cbranch_execz .LBB34_116
; %bb.115:
	s_waitcnt lgkmcnt(5)
	v_cmp_gt_f32_e32 vcc_lo, v9, v17
	s_waitcnt lgkmcnt(3)
	v_sub_f32_e32 v2, v16, v11
	s_waitcnt lgkmcnt(0)
	v_dual_sub_f32 v19, v8, v7 :: v_dual_add_f32 v4, v14, v4
	s_delay_alu instid0(VALU_DEP_2) | instskip(SKIP_3) | instid1(VALU_DEP_4)
	v_dual_cndmask_b32 v9, v9, v17 :: v_dual_mul_f32 v18, v2, v2
	v_add_f32_e32 v6, v8, v7
	v_mul_f32_e32 v17, v2, v7
	v_dual_add_f32 v16, v12, v15 :: v_dual_mul_f32 v27, 0x40400000, v2
	v_mul_f32_e32 v22, v8, v18
	v_mul_f32_e32 v25, v2, v18
	s_delay_alu instid0(VALU_DEP_4) | instskip(SKIP_1) | instid1(VALU_DEP_3)
	v_div_scale_f32 v21, null, v6, v6, v17
	v_dual_mul_f32 v23, v8, v8 :: v_dual_mul_f32 v24, v6, v6
	v_mul_f32_e32 v28, v8, v25
	s_delay_alu instid0(VALU_DEP_3) | instskip(SKIP_1) | instid1(VALU_DEP_3)
	v_rcp_f32_e32 v26, v21
	v_dual_mul_f32 v25, v2, v25 :: v_dual_mul_f32 v20, v12, v7
	v_mul_f32_e32 v31, v6, v24
	v_div_scale_f32 v34, vcc_lo, v17, v6, v17
	v_fma_f32 v30, -v8, v7, v23
	s_delay_alu instid0(VALU_DEP_4) | instskip(SKIP_1) | instid1(TRANS32_DEP_1)
	v_fma_f32 v20, v8, v15, -v20
	v_dual_mul_f32 v15, v23, v15 :: v_dual_mul_f32 v2, 4.0, v2
	v_fma_f32 v32, -v21, v26, 1.0
	s_delay_alu instid0(VALU_DEP_1) | instskip(SKIP_1) | instid1(VALU_DEP_1)
	v_fmac_f32_e32 v26, v32, v26
	v_mul_f32_e32 v25, v8, v25
	v_mul_f32_e32 v25, v25, v7
	;; [unrolled: 1-line block ×3, first 2 shown]
	s_delay_alu instid0(VALU_DEP_1) | instskip(NEXT) | instid1(VALU_DEP_1)
	v_dual_mul_f32 v22, v22, v7 :: v_dual_mul_f32 v19, v19, v28
	v_div_scale_f32 v29, null, v6, v6, v22
	v_mul_f32_e32 v28, v34, v26
	v_div_scale_f32 v35, s0, v22, v6, v22
	s_delay_alu instid0(VALU_DEP_3) | instskip(NEXT) | instid1(VALU_DEP_2)
	v_rcp_f32_e32 v33, v29
	v_fma_f32 v37, -v21, v28, v34
	s_delay_alu instid0(VALU_DEP_1)
	v_fmac_f32_e32 v28, v37, v26
	s_waitcnt_depctr 0xfff
	v_fma_f32 v32, -v29, v33, 1.0
	v_mul_f32_e32 v20, v27, v20
	v_div_scale_f32 v27, null, v24, v24, v19
	v_fma_f32 v21, -v21, v28, v34
	s_delay_alu instid0(VALU_DEP_4) | instskip(NEXT) | instid1(VALU_DEP_4)
	v_fmac_f32_e32 v33, v32, v33
	v_div_scale_f32 v32, null, v6, v6, v20
	s_delay_alu instid0(VALU_DEP_4) | instskip(NEXT) | instid1(VALU_DEP_3)
	v_rcp_f32_e32 v36, v27
	v_div_fmas_f32 v21, v21, v26, v28
	s_delay_alu instid0(VALU_DEP_3) | instskip(NEXT) | instid1(VALU_DEP_3)
	v_mul_f32_e32 v37, v35, v33
	v_rcp_f32_e32 v38, v32
	v_mul_f32_e32 v26, v7, v7
	s_mov_b32 vcc_lo, s0
	s_delay_alu instid0(VALU_DEP_2) | instskip(NEXT) | instid1(VALU_DEP_2)
	v_fma_f32 v34, -v29, v37, v35
	v_dual_fmac_f32 v30, v7, v7 :: v_dual_fmac_f32 v15, v12, v26
	s_delay_alu instid0(TRANS32_DEP_2) | instskip(SKIP_1) | instid1(VALU_DEP_4)
	v_fma_f32 v39, -v27, v36, 1.0
	v_div_scale_f32 v12, s1, v19, v24, v19
	v_fmac_f32_e32 v37, v34, v33
	s_delay_alu instid0(VALU_DEP_3) | instskip(NEXT) | instid1(TRANS32_DEP_1)
	v_dual_mul_f32 v25, v30, v25 :: v_dual_fmac_f32 v36, v39, v36
	v_fma_f32 v26, -v32, v38, 1.0
	v_dual_mul_f32 v18, 0x40c00000, v18 :: v_dual_mul_f32 v7, v13, v7
	s_delay_alu instid0(VALU_DEP_3) | instskip(NEXT) | instid1(VALU_DEP_3)
	v_div_scale_f32 v23, null, v31, v31, v25
	v_fmac_f32_e32 v38, v26, v38
	s_delay_alu instid0(VALU_DEP_3) | instskip(SKIP_1) | instid1(VALU_DEP_4)
	v_mul_f32_e32 v15, v18, v15
	v_fma_f32 v18, -v29, v37, v35
	v_rcp_f32_e32 v28, v23
	v_mul_f32_e32 v29, v12, v36
	v_fma_f32 v7, v8, v5, -v7
	v_div_scale_f32 v26, null, v24, v24, v15
	v_div_scale_f32 v30, s2, v20, v6, v20
	s_delay_alu instid0(VALU_DEP_3) | instskip(SKIP_1) | instid1(VALU_DEP_4)
	v_mul_f32_e32 v2, v2, v7
	v_fma_f32 v7, -v27, v29, v12
	v_rcp_f32_e32 v8, v26
	s_delay_alu instid0(TRANS32_DEP_2) | instskip(SKIP_3) | instid1(VALU_DEP_4)
	v_fma_f32 v34, -v23, v28, 1.0
	v_div_fmas_f32 v18, v18, v33, v37
	v_div_scale_f32 v35, s0, v25, v31, v25
	v_fmac_f32_e32 v29, v7, v36
	v_dual_fmac_f32 v28, v34, v28 :: v_dual_add_f32 v5, v13, v5
	v_div_scale_f32 v34, null, v6, v6, v2
	s_delay_alu instid0(VALU_DEP_2) | instskip(NEXT) | instid1(TRANS32_DEP_1)
	v_dual_mul_f32 v33, v30, v38 :: v_dual_mul_f32 v40, v35, v28
	v_fma_f32 v37, -v26, v8, 1.0
	s_delay_alu instid0(VALU_DEP_3) | instskip(SKIP_1) | instid1(VALU_DEP_3)
	v_rcp_f32_e32 v39, v34
	v_fma_f32 v12, -v27, v29, v12
	v_fma_f32 v7, -v32, v33, v30
	s_mov_b32 vcc_lo, s1
	v_fmac_f32_e32 v8, v37, v8
	v_div_scale_f32 v37, s3, v15, v24, v15
	s_delay_alu instid0(VALU_DEP_3) | instskip(SKIP_2) | instid1(TRANS32_DEP_1)
	v_fmac_f32_e32 v33, v7, v38
	v_fma_f32 v7, -v23, v40, v35
	v_div_fmas_f32 v12, v12, v36, v29
	v_fma_f32 v27, -v34, v39, 1.0
	s_mov_b32 vcc_lo, s2
	v_fma_f32 v29, -v32, v33, v30
	v_fmac_f32_e32 v40, v7, v28
	v_div_fixup_f32 v12, v12, v24, v19
	v_fmac_f32_e32 v39, v27, v39
	v_div_scale_f32 v27, s1, v2, v6, v2
	v_mul_f32_e32 v13, v37, v8
	v_fma_f32 v23, -v23, v40, v35
	v_div_fmas_f32 v29, v29, v38, v33
	s_delay_alu instid0(VALU_DEP_4) | instskip(SKIP_3) | instid1(VALU_DEP_2)
	v_mul_f32_e32 v30, v27, v39
	s_mov_b32 vcc_lo, s0
	v_fma_f32 v7, -v26, v13, v37
	v_add_f32_e32 v5, v5, v12
	v_fmac_f32_e32 v13, v7, v8
	v_div_fmas_f32 v7, v23, v28, v40
	v_fma_f32 v23, -v34, v30, v27
	s_mov_b32 vcc_lo, s3
	s_delay_alu instid0(VALU_DEP_2) | instskip(NEXT) | instid1(VALU_DEP_2)
	v_div_fixup_f32 v7, v7, v31, v25
	v_fmac_f32_e32 v30, v23, v39
	s_delay_alu instid0(VALU_DEP_2) | instskip(SKIP_1) | instid1(VALU_DEP_3)
	v_add_f32_e32 v4, v4, v7
	v_fma_f32 v14, -v26, v13, v37
	v_fma_f32 v12, -v34, v30, v27
	s_delay_alu instid0(VALU_DEP_2) | instskip(SKIP_3) | instid1(VALU_DEP_3)
	v_div_fmas_f32 v8, v14, v8, v13
	s_mov_b32 vcc_lo, s1
	v_div_fixup_f32 v13, v18, v6, v22
	v_div_fixup_f32 v14, v21, v6, v17
	;; [unrolled: 1-line block ×3, first 2 shown]
	v_div_fmas_f32 v8, v12, v39, v30
	v_div_fixup_f32 v12, v29, v6, v20
	v_add_f32_e32 v15, v16, v13
	v_cmp_lt_f32_e32 vcc_lo, v10, v3
	v_add_f32_e32 v4, v7, v4
	v_div_fixup_f32 v2, v8, v6, v2
	v_add_f32_e32 v13, v12, v5
	v_dual_add_f32 v11, v11, v14 :: v_dual_cndmask_b32 v10, v10, v3
	v_mov_b32_e32 v12, v15
	s_delay_alu instid0(VALU_DEP_4)
	v_add_f32_e32 v14, v2, v4
	v_mov_b32_e32 v8, v6
.LBB34_116:
	s_or_b32 exec_lo, exec_lo, s5
	s_delay_alu instid0(SALU_CYCLE_1)
	s_mov_b32 s0, exec_lo
	v_cmpx_eq_u32_e32 0, v1
	s_cbranch_execz .LBB34_118
; %bb.117:
	v_lshrrev_b32_e32 v2, 5, v0
	s_delay_alu instid0(VALU_DEP_1)
	v_mul_u32_u24_e32 v2, 28, v2
	ds_store_2addr_b32 v2, v8, v9 offset1:1
	ds_store_2addr_b32 v2, v10, v11 offset0:2 offset1:3
	ds_store_2addr_b32 v2, v12, v13 offset0:4 offset1:5
	ds_store_b32 v2, v14 offset:24
.LBB34_118:
	s_or_b32 exec_lo, exec_lo, s0
	s_delay_alu instid0(SALU_CYCLE_1)
	s_mov_b32 s5, exec_lo
	s_waitcnt lgkmcnt(0)
	s_barrier
	buffer_gl0_inv
	v_cmpx_gt_u32_e32 8, v0
	s_cbranch_execz .LBB34_126
; %bb.119:
	v_mul_u32_u24_e32 v3, 28, v1
	s_add_i32 s4, s4, 31
	ds_load_2addr_b32 v[8:9], v3 offset1:1
	ds_load_2addr_b32 v[10:11], v3 offset0:2 offset1:3
	ds_load_2addr_b32 v[12:13], v3 offset0:4 offset1:5
	ds_load_b32 v14, v3 offset:24
	v_and_b32_e32 v2, 7, v1
	s_lshr_b32 s4, s4, 5
	s_waitcnt lgkmcnt(1)
	v_mov_b32_e32 v17, v13
	s_delay_alu instid0(VALU_DEP_2) | instskip(SKIP_2) | instid1(VALU_DEP_1)
	v_cmp_ne_u32_e32 vcc_lo, 7, v2
	v_mov_b32_e32 v16, v12
	v_add_co_ci_u32_e32 v3, vcc_lo, 0, v1, vcc_lo
	v_lshlrev_b32_e32 v3, 2, v3
	ds_bpermute_b32 v7, v3, v8
	ds_bpermute_b32 v18, v3, v9
	;; [unrolled: 1-line block ×6, first 2 shown]
	s_waitcnt lgkmcnt(6)
	ds_bpermute_b32 v5, v3, v14
	v_add_nc_u32_e32 v3, 1, v2
	s_delay_alu instid0(VALU_DEP_1)
	v_cmp_gt_u32_e32 vcc_lo, s4, v3
	v_mov_b32_e32 v3, v8
	s_and_saveexec_b32 s6, vcc_lo
	s_cbranch_execz .LBB34_121
; %bb.120:
	s_waitcnt lgkmcnt(5)
	v_cmp_gt_f32_e32 vcc_lo, v9, v18
	s_waitcnt lgkmcnt(3)
	v_sub_f32_e32 v16, v19, v11
	s_waitcnt lgkmcnt(0)
	v_dual_sub_f32 v20, v8, v7 :: v_dual_add_f32 v5, v14, v5
	v_cndmask_b32_e32 v9, v9, v18, vcc_lo
	s_delay_alu instid0(VALU_DEP_3) | instskip(SKIP_3) | instid1(VALU_DEP_4)
	v_dual_add_f32 v3, v8, v7 :: v_dual_mul_f32 v28, 0x40400000, v16
	v_mul_f32_e32 v24, v8, v8
	v_mul_f32_e32 v19, v16, v16
	;; [unrolled: 1-line block ×4, first 2 shown]
	v_add_f32_e32 v17, v12, v15
	v_fma_f32 v31, -v8, v7, v24
	s_delay_alu instid0(VALU_DEP_4) | instskip(NEXT) | instid1(VALU_DEP_4)
	v_div_scale_f32 v22, null, v3, v3, v18
	v_mul_f32_e32 v32, v3, v25
	s_delay_alu instid0(VALU_DEP_3) | instskip(SKIP_1) | instid1(VALU_DEP_4)
	v_fmac_f32_e32 v31, v7, v7
	v_mul_f32_e32 v23, v8, v19
	v_rcp_f32_e32 v27, v22
	v_div_scale_f32 v35, vcc_lo, v18, v3, v18
	s_delay_alu instid0(VALU_DEP_2) | instskip(NEXT) | instid1(VALU_DEP_1)
	v_mul_f32_e32 v23, v23, v7
	v_div_scale_f32 v30, null, v3, v3, v23
	s_waitcnt_depctr 0xfff
	v_fma_f32 v33, -v22, v27, 1.0
	v_rcp_f32_e32 v34, v30
	s_delay_alu instid0(VALU_DEP_1) | instskip(SKIP_2) | instid1(VALU_DEP_1)
	v_fmac_f32_e32 v27, v33, v27
	s_waitcnt_depctr 0xfff
	v_fma_f32 v33, -v30, v34, 1.0
	v_fmac_f32_e32 v34, v33, v34
	v_mul_f32_e32 v26, v16, v19
	v_mul_f32_e32 v19, 0x40c00000, v19
	s_delay_alu instid0(VALU_DEP_2) | instskip(SKIP_2) | instid1(VALU_DEP_2)
	v_mul_f32_e32 v29, v8, v26
	v_mul_f32_e32 v26, v16, v26
	v_mul_f32_e32 v16, 4.0, v16
	v_mul_f32_e32 v26, v8, v26
	s_delay_alu instid0(VALU_DEP_1) | instskip(SKIP_1) | instid1(VALU_DEP_1)
	v_mul_f32_e32 v26, v26, v7
	v_mul_f32_e32 v29, v29, v7
	v_dual_mul_f32 v20, v20, v29 :: v_dual_mul_f32 v29, v35, v27
	v_div_scale_f32 v36, s0, v23, v3, v23
	s_delay_alu instid0(VALU_DEP_2) | instskip(NEXT) | instid1(VALU_DEP_1)
	v_fma_f32 v38, -v22, v29, v35
	v_dual_fmac_f32 v29, v38, v27 :: v_dual_mul_f32 v38, v36, v34
	s_delay_alu instid0(VALU_DEP_1) | instskip(NEXT) | instid1(VALU_DEP_2)
	v_fma_f32 v22, -v22, v29, v35
	v_fma_f32 v35, -v30, v38, v36
	v_mul_f32_e32 v21, v12, v7
	s_delay_alu instid0(VALU_DEP_3) | instskip(NEXT) | instid1(VALU_DEP_3)
	v_div_fmas_f32 v22, v22, v27, v29
	v_fmac_f32_e32 v38, v35, v34
	s_delay_alu instid0(VALU_DEP_3)
	v_fma_f32 v21, v8, v15, -v21
	v_mul_f32_e32 v27, v7, v7
	v_mul_f32_e32 v15, v24, v15
	;; [unrolled: 1-line block ×3, first 2 shown]
	s_mov_b32 vcc_lo, s0
	v_mul_f32_e32 v21, v28, v21
	v_div_scale_f32 v28, null, v25, v25, v20
	s_delay_alu instid0(VALU_DEP_3) | instskip(SKIP_1) | instid1(VALU_DEP_4)
	v_fma_f32 v7, v8, v6, -v7
	v_add_f32_e32 v6, v13, v6
	v_div_scale_f32 v33, null, v3, v3, v21
	s_delay_alu instid0(VALU_DEP_4) | instskip(SKIP_2) | instid1(VALU_DEP_3)
	v_rcp_f32_e32 v37, v28
	v_fmac_f32_e32 v15, v12, v27
	v_div_scale_f32 v12, s1, v20, v25, v20
	v_rcp_f32_e32 v39, v33
	v_mul_f32_e32 v7, v16, v7
	s_delay_alu instid0(VALU_DEP_3) | instskip(SKIP_1) | instid1(TRANS32_DEP_2)
	v_mul_f32_e32 v15, v19, v15
	v_fma_f32 v19, -v30, v38, v36
	v_fma_f32 v40, -v28, v37, 1.0
	s_delay_alu instid0(VALU_DEP_2) | instskip(SKIP_3) | instid1(VALU_DEP_1)
	v_div_fmas_f32 v19, v19, v34, v38
	s_mov_b32 vcc_lo, s1
	s_waitcnt_depctr 0xfff
	v_fma_f32 v27, -v33, v39, 1.0
	v_fmac_f32_e32 v39, v27, v39
	v_fmac_f32_e32 v37, v40, v37
	s_delay_alu instid0(VALU_DEP_1) | instskip(NEXT) | instid1(VALU_DEP_1)
	v_mul_f32_e32 v30, v12, v37
	v_fma_f32 v16, -v28, v30, v12
	s_delay_alu instid0(VALU_DEP_1) | instskip(SKIP_2) | instid1(VALU_DEP_3)
	v_fmac_f32_e32 v30, v16, v37
	v_mul_f32_e32 v26, v31, v26
	v_div_scale_f32 v31, s2, v21, v3, v21
	v_fma_f32 v12, -v28, v30, v12
	s_delay_alu instid0(VALU_DEP_3) | instskip(NEXT) | instid1(VALU_DEP_3)
	v_div_scale_f32 v24, null, v32, v32, v26
	v_mul_f32_e32 v34, v31, v39
	v_div_scale_f32 v36, s0, v26, v32, v26
	s_delay_alu instid0(VALU_DEP_3) | instskip(SKIP_1) | instid1(VALU_DEP_3)
	v_rcp_f32_e32 v29, v24
	v_div_fmas_f32 v12, v12, v37, v30
	v_fma_f32 v16, -v33, v34, v31
	s_mov_b32 vcc_lo, s2
	s_delay_alu instid0(VALU_DEP_2) | instskip(SKIP_3) | instid1(VALU_DEP_2)
	v_div_fixup_f32 v12, v12, v25, v20
	s_waitcnt_depctr 0xfff
	v_fma_f32 v35, -v24, v29, 1.0
	v_add_f32_e32 v6, v6, v12
	v_dual_fmac_f32 v34, v16, v39 :: v_dual_fmac_f32 v29, v35, v29
	v_div_scale_f32 v35, null, v3, v3, v7
	s_delay_alu instid0(VALU_DEP_2) | instskip(NEXT) | instid1(VALU_DEP_3)
	v_fma_f32 v30, -v33, v34, v31
	v_mul_f32_e32 v41, v36, v29
	s_delay_alu instid0(VALU_DEP_3) | instskip(NEXT) | instid1(VALU_DEP_2)
	v_rcp_f32_e32 v40, v35
	v_div_fmas_f32 v30, v30, v39, v34
	s_mov_b32 vcc_lo, s0
	s_delay_alu instid0(VALU_DEP_2) | instskip(NEXT) | instid1(VALU_DEP_1)
	v_fma_f32 v13, -v24, v41, v36
	v_fmac_f32_e32 v41, v13, v29
	s_waitcnt_depctr 0xfff
	v_fma_f32 v28, -v35, v40, 1.0
	v_fma_f32 v24, -v24, v41, v36
	s_delay_alu instid0(VALU_DEP_2) | instskip(SKIP_1) | instid1(VALU_DEP_1)
	v_fmac_f32_e32 v40, v28, v40
	v_div_scale_f32 v27, null, v25, v25, v15
	v_rcp_f32_e32 v8, v27
	s_waitcnt_depctr 0xfff
	v_fma_f32 v38, -v27, v8, 1.0
	s_delay_alu instid0(VALU_DEP_1) | instskip(SKIP_1) | instid1(VALU_DEP_1)
	v_fmac_f32_e32 v8, v38, v8
	v_div_scale_f32 v38, s3, v15, v25, v15
	v_mul_f32_e32 v16, v38, v8
	s_delay_alu instid0(VALU_DEP_1) | instskip(NEXT) | instid1(VALU_DEP_1)
	v_fma_f32 v13, -v27, v16, v38
	v_fmac_f32_e32 v16, v13, v8
	v_div_fmas_f32 v13, v24, v29, v41
	s_mov_b32 vcc_lo, s3
	s_delay_alu instid0(VALU_DEP_2) | instskip(NEXT) | instid1(VALU_DEP_2)
	v_fma_f32 v14, -v27, v16, v38
	v_div_fixup_f32 v13, v13, v32, v26
	s_delay_alu instid0(VALU_DEP_2) | instskip(SKIP_1) | instid1(VALU_DEP_3)
	v_div_fmas_f32 v8, v14, v8, v16
	v_div_fixup_f32 v14, v19, v3, v23
	v_add_f32_e32 v5, v5, v13
	v_div_fixup_f32 v13, v30, v3, v21
	s_delay_alu instid0(VALU_DEP_4) | instskip(NEXT) | instid1(VALU_DEP_4)
	v_div_fixup_f32 v8, v8, v25, v15
	v_add_f32_e32 v16, v17, v14
	v_div_scale_f32 v28, s1, v7, v3, v7
	s_delay_alu instid0(VALU_DEP_1) | instskip(NEXT) | instid1(VALU_DEP_3)
	s_mov_b32 vcc_lo, s1
	v_dual_add_f32 v5, v8, v5 :: v_dual_mov_b32 v8, v3
	s_delay_alu instid0(VALU_DEP_2) | instskip(SKIP_2) | instid1(VALU_DEP_3)
	v_mul_f32_e32 v31, v28, v40
	v_div_fixup_f32 v15, v22, v3, v18
	v_add_f32_e32 v17, v13, v6
	v_fma_f32 v24, -v35, v31, v28
	s_delay_alu instid0(VALU_DEP_3) | instskip(NEXT) | instid1(VALU_DEP_2)
	v_add_f32_e32 v11, v11, v15
	v_fmac_f32_e32 v31, v24, v40
	s_delay_alu instid0(VALU_DEP_1) | instskip(NEXT) | instid1(VALU_DEP_1)
	v_fma_f32 v12, -v35, v31, v28
	v_div_fmas_f32 v12, v12, v40, v31
	v_cmp_lt_f32_e32 vcc_lo, v10, v4
	s_delay_alu instid0(VALU_DEP_2) | instskip(SKIP_2) | instid1(VALU_DEP_3)
	v_div_fixup_f32 v7, v12, v3, v7
	v_mov_b32_e32 v12, v16
	v_dual_cndmask_b32 v10, v10, v4 :: v_dual_mov_b32 v13, v17
	v_add_f32_e32 v14, v7, v5
.LBB34_121:
	s_or_b32 exec_lo, exec_lo, s6
	v_cmp_gt_u32_e32 vcc_lo, 6, v2
	v_add_nc_u32_e32 v20, 2, v2
	s_mov_b32 s6, exec_lo
	s_waitcnt lgkmcnt(4)
	v_cndmask_b32_e64 v4, 0, 1, vcc_lo
	s_delay_alu instid0(VALU_DEP_1) | instskip(SKIP_1) | instid1(VALU_DEP_1)
	v_lshlrev_b32_e32 v4, 1, v4
	s_waitcnt lgkmcnt(0)
	v_add_lshl_u32 v5, v4, v1, 2
	ds_bpermute_b32 v7, v5, v3
	ds_bpermute_b32 v18, v5, v9
	;; [unrolled: 1-line block ×7, first 2 shown]
	v_cmpx_gt_u32_e64 s4, v20
	s_cbranch_execz .LBB34_123
; %bb.122:
	s_waitcnt lgkmcnt(5)
	v_cmp_gt_f32_e32 vcc_lo, v9, v18
	s_waitcnt lgkmcnt(3)
	v_sub_f32_e32 v16, v19, v11
	s_waitcnt lgkmcnt(0)
	v_dual_sub_f32 v20, v8, v7 :: v_dual_add_f32 v5, v14, v5
	v_cndmask_b32_e32 v9, v9, v18, vcc_lo
	s_delay_alu instid0(VALU_DEP_3) | instskip(SKIP_3) | instid1(VALU_DEP_4)
	v_dual_add_f32 v3, v8, v7 :: v_dual_mul_f32 v28, 0x40400000, v16
	v_mul_f32_e32 v24, v8, v8
	v_mul_f32_e32 v19, v16, v16
	;; [unrolled: 1-line block ×4, first 2 shown]
	v_add_f32_e32 v17, v12, v15
	v_fma_f32 v31, -v8, v7, v24
	s_delay_alu instid0(VALU_DEP_4) | instskip(NEXT) | instid1(VALU_DEP_4)
	v_div_scale_f32 v22, null, v3, v3, v18
	v_mul_f32_e32 v32, v3, v25
	s_delay_alu instid0(VALU_DEP_3) | instskip(SKIP_1) | instid1(VALU_DEP_4)
	v_fmac_f32_e32 v31, v7, v7
	v_mul_f32_e32 v23, v8, v19
	v_rcp_f32_e32 v27, v22
	v_div_scale_f32 v35, vcc_lo, v18, v3, v18
	s_delay_alu instid0(VALU_DEP_2) | instskip(NEXT) | instid1(VALU_DEP_1)
	v_mul_f32_e32 v23, v23, v7
	v_div_scale_f32 v30, null, v3, v3, v23
	s_waitcnt_depctr 0xfff
	v_fma_f32 v33, -v22, v27, 1.0
	v_rcp_f32_e32 v34, v30
	s_delay_alu instid0(VALU_DEP_1) | instskip(SKIP_2) | instid1(VALU_DEP_1)
	v_fmac_f32_e32 v27, v33, v27
	s_waitcnt_depctr 0xfff
	v_fma_f32 v33, -v30, v34, 1.0
	v_fmac_f32_e32 v34, v33, v34
	v_mul_f32_e32 v26, v16, v19
	v_mul_f32_e32 v19, 0x40c00000, v19
	s_delay_alu instid0(VALU_DEP_2) | instskip(SKIP_2) | instid1(VALU_DEP_2)
	v_mul_f32_e32 v29, v8, v26
	v_mul_f32_e32 v26, v16, v26
	v_mul_f32_e32 v16, 4.0, v16
	v_mul_f32_e32 v26, v8, v26
	s_delay_alu instid0(VALU_DEP_1) | instskip(SKIP_1) | instid1(VALU_DEP_1)
	v_mul_f32_e32 v26, v26, v7
	v_mul_f32_e32 v29, v29, v7
	v_dual_mul_f32 v20, v20, v29 :: v_dual_mul_f32 v29, v35, v27
	v_div_scale_f32 v36, s0, v23, v3, v23
	s_delay_alu instid0(VALU_DEP_2) | instskip(NEXT) | instid1(VALU_DEP_1)
	v_fma_f32 v38, -v22, v29, v35
	v_dual_fmac_f32 v29, v38, v27 :: v_dual_mul_f32 v38, v36, v34
	s_delay_alu instid0(VALU_DEP_1) | instskip(NEXT) | instid1(VALU_DEP_2)
	v_fma_f32 v22, -v22, v29, v35
	v_fma_f32 v35, -v30, v38, v36
	v_mul_f32_e32 v21, v12, v7
	s_delay_alu instid0(VALU_DEP_3) | instskip(NEXT) | instid1(VALU_DEP_3)
	v_div_fmas_f32 v22, v22, v27, v29
	v_fmac_f32_e32 v38, v35, v34
	s_delay_alu instid0(VALU_DEP_3)
	v_fma_f32 v21, v8, v15, -v21
	v_mul_f32_e32 v27, v7, v7
	v_mul_f32_e32 v15, v24, v15
	;; [unrolled: 1-line block ×3, first 2 shown]
	s_mov_b32 vcc_lo, s0
	v_mul_f32_e32 v21, v28, v21
	v_div_scale_f32 v28, null, v25, v25, v20
	s_delay_alu instid0(VALU_DEP_3) | instskip(SKIP_1) | instid1(VALU_DEP_4)
	v_fma_f32 v7, v8, v6, -v7
	v_add_f32_e32 v6, v13, v6
	v_div_scale_f32 v33, null, v3, v3, v21
	s_delay_alu instid0(VALU_DEP_4) | instskip(SKIP_2) | instid1(VALU_DEP_3)
	v_rcp_f32_e32 v37, v28
	v_fmac_f32_e32 v15, v12, v27
	v_div_scale_f32 v12, s1, v20, v25, v20
	v_rcp_f32_e32 v39, v33
	v_mul_f32_e32 v7, v16, v7
	s_delay_alu instid0(VALU_DEP_3) | instskip(SKIP_1) | instid1(TRANS32_DEP_2)
	v_mul_f32_e32 v15, v19, v15
	v_fma_f32 v19, -v30, v38, v36
	v_fma_f32 v40, -v28, v37, 1.0
	s_delay_alu instid0(VALU_DEP_2) | instskip(SKIP_3) | instid1(VALU_DEP_1)
	v_div_fmas_f32 v19, v19, v34, v38
	s_mov_b32 vcc_lo, s1
	s_waitcnt_depctr 0xfff
	v_fma_f32 v27, -v33, v39, 1.0
	v_fmac_f32_e32 v39, v27, v39
	v_fmac_f32_e32 v37, v40, v37
	s_delay_alu instid0(VALU_DEP_1) | instskip(NEXT) | instid1(VALU_DEP_1)
	v_mul_f32_e32 v30, v12, v37
	v_fma_f32 v16, -v28, v30, v12
	s_delay_alu instid0(VALU_DEP_1) | instskip(SKIP_2) | instid1(VALU_DEP_3)
	v_fmac_f32_e32 v30, v16, v37
	v_mul_f32_e32 v26, v31, v26
	v_div_scale_f32 v31, s2, v21, v3, v21
	v_fma_f32 v12, -v28, v30, v12
	s_delay_alu instid0(VALU_DEP_3) | instskip(NEXT) | instid1(VALU_DEP_3)
	v_div_scale_f32 v24, null, v32, v32, v26
	v_mul_f32_e32 v34, v31, v39
	v_div_scale_f32 v36, s0, v26, v32, v26
	s_delay_alu instid0(VALU_DEP_3) | instskip(SKIP_1) | instid1(VALU_DEP_3)
	v_rcp_f32_e32 v29, v24
	v_div_fmas_f32 v12, v12, v37, v30
	v_fma_f32 v16, -v33, v34, v31
	s_mov_b32 vcc_lo, s2
	s_delay_alu instid0(VALU_DEP_2) | instskip(SKIP_3) | instid1(VALU_DEP_2)
	v_div_fixup_f32 v12, v12, v25, v20
	s_waitcnt_depctr 0xfff
	v_fma_f32 v35, -v24, v29, 1.0
	v_add_f32_e32 v6, v6, v12
	v_dual_fmac_f32 v34, v16, v39 :: v_dual_fmac_f32 v29, v35, v29
	v_div_scale_f32 v35, null, v3, v3, v7
	s_delay_alu instid0(VALU_DEP_2) | instskip(NEXT) | instid1(VALU_DEP_3)
	v_fma_f32 v30, -v33, v34, v31
	v_mul_f32_e32 v41, v36, v29
	s_delay_alu instid0(VALU_DEP_3) | instskip(NEXT) | instid1(VALU_DEP_2)
	v_rcp_f32_e32 v40, v35
	v_div_fmas_f32 v30, v30, v39, v34
	s_mov_b32 vcc_lo, s0
	s_delay_alu instid0(VALU_DEP_2) | instskip(NEXT) | instid1(VALU_DEP_1)
	v_fma_f32 v13, -v24, v41, v36
	v_fmac_f32_e32 v41, v13, v29
	s_waitcnt_depctr 0xfff
	v_fma_f32 v28, -v35, v40, 1.0
	v_fma_f32 v24, -v24, v41, v36
	s_delay_alu instid0(VALU_DEP_2) | instskip(SKIP_1) | instid1(VALU_DEP_1)
	v_fmac_f32_e32 v40, v28, v40
	v_div_scale_f32 v27, null, v25, v25, v15
	v_rcp_f32_e32 v8, v27
	s_waitcnt_depctr 0xfff
	v_fma_f32 v38, -v27, v8, 1.0
	s_delay_alu instid0(VALU_DEP_1) | instskip(SKIP_1) | instid1(VALU_DEP_1)
	v_fmac_f32_e32 v8, v38, v8
	v_div_scale_f32 v38, s3, v15, v25, v15
	v_mul_f32_e32 v16, v38, v8
	s_delay_alu instid0(VALU_DEP_1) | instskip(NEXT) | instid1(VALU_DEP_1)
	v_fma_f32 v13, -v27, v16, v38
	v_fmac_f32_e32 v16, v13, v8
	v_div_fmas_f32 v13, v24, v29, v41
	s_mov_b32 vcc_lo, s3
	s_delay_alu instid0(VALU_DEP_2) | instskip(NEXT) | instid1(VALU_DEP_2)
	v_fma_f32 v14, -v27, v16, v38
	v_div_fixup_f32 v13, v13, v32, v26
	s_delay_alu instid0(VALU_DEP_2) | instskip(SKIP_1) | instid1(VALU_DEP_3)
	v_div_fmas_f32 v8, v14, v8, v16
	v_div_fixup_f32 v14, v19, v3, v23
	v_add_f32_e32 v5, v5, v13
	v_div_fixup_f32 v13, v30, v3, v21
	s_delay_alu instid0(VALU_DEP_4) | instskip(NEXT) | instid1(VALU_DEP_4)
	v_div_fixup_f32 v8, v8, v25, v15
	v_add_f32_e32 v16, v17, v14
	v_div_scale_f32 v28, s1, v7, v3, v7
	s_delay_alu instid0(VALU_DEP_1) | instskip(NEXT) | instid1(VALU_DEP_3)
	s_mov_b32 vcc_lo, s1
	v_dual_add_f32 v5, v8, v5 :: v_dual_mov_b32 v8, v3
	s_delay_alu instid0(VALU_DEP_2) | instskip(SKIP_2) | instid1(VALU_DEP_3)
	v_mul_f32_e32 v31, v28, v40
	v_div_fixup_f32 v15, v22, v3, v18
	v_add_f32_e32 v17, v13, v6
	v_fma_f32 v24, -v35, v31, v28
	s_delay_alu instid0(VALU_DEP_3) | instskip(NEXT) | instid1(VALU_DEP_2)
	v_add_f32_e32 v11, v11, v15
	v_fmac_f32_e32 v31, v24, v40
	s_delay_alu instid0(VALU_DEP_1) | instskip(NEXT) | instid1(VALU_DEP_1)
	v_fma_f32 v12, -v35, v31, v28
	v_div_fmas_f32 v12, v12, v40, v31
	v_cmp_lt_f32_e32 vcc_lo, v10, v4
	s_delay_alu instid0(VALU_DEP_2) | instskip(SKIP_2) | instid1(VALU_DEP_3)
	v_div_fixup_f32 v7, v12, v3, v7
	v_mov_b32_e32 v12, v16
	v_dual_cndmask_b32 v10, v10, v4 :: v_dual_mov_b32 v13, v17
	v_add_f32_e32 v14, v7, v5
.LBB34_123:
	s_or_b32 exec_lo, exec_lo, s6
	v_cmp_gt_u32_e32 vcc_lo, 4, v2
	v_add_nc_u32_e32 v2, 4, v2
	s_mov_b32 s6, exec_lo
	s_waitcnt lgkmcnt(4)
	v_cndmask_b32_e64 v4, 0, 1, vcc_lo
	s_delay_alu instid0(VALU_DEP_1) | instskip(SKIP_1) | instid1(VALU_DEP_1)
	v_lshlrev_b32_e32 v4, 2, v4
	s_waitcnt lgkmcnt(0)
	v_add_lshl_u32 v5, v4, v1, 2
	ds_bpermute_b32 v6, v5, v3
	ds_bpermute_b32 v7, v5, v9
	;; [unrolled: 1-line block ×7, first 2 shown]
	v_cmpx_gt_u32_e64 s4, v2
	s_cbranch_execz .LBB34_125
; %bb.124:
	s_waitcnt lgkmcnt(3)
	v_dual_sub_f32 v2, v15, v11 :: v_dual_add_f32 v15, v8, v6
	v_cmp_gt_f32_e32 vcc_lo, v9, v7
	v_mul_f32_e32 v20, v8, v8
	v_sub_f32_e32 v16, v8, v6
	s_delay_alu instid0(VALU_DEP_4)
	v_dual_mul_f32 v18, v2, v2 :: v_dual_mul_f32 v21, v15, v15
	v_cndmask_b32_e32 v9, v9, v7, vcc_lo
	v_mul_f32_e32 v7, v2, v6
	v_mul_f32_e32 v17, v12, v6
	v_fma_f32 v27, -v8, v6, v20
	v_mul_f32_e32 v28, v15, v21
	s_waitcnt lgkmcnt(0)
	v_add_f32_e32 v5, v14, v5
	v_div_scale_f32 v19, null, v15, v15, v7
	v_div_scale_f32 v31, vcc_lo, v7, v15, v7
	v_fma_f32 v17, v8, v4, -v17
	s_delay_alu instid0(VALU_DEP_3) | instskip(SKIP_4) | instid1(VALU_DEP_1)
	v_rcp_f32_e32 v24, v19
	v_dual_fmac_f32 v27, v6, v6 :: v_dual_mul_f32 v20, v20, v4
	v_add_f32_e32 v4, v12, v4
	s_waitcnt_depctr 0xfff
	v_fma_f32 v30, -v19, v24, 1.0
	v_fmac_f32_e32 v24, v30, v24
	v_mul_f32_e32 v23, v2, v18
	s_delay_alu instid0(VALU_DEP_1) | instskip(NEXT) | instid1(VALU_DEP_1)
	v_dual_mul_f32 v25, 0x40400000, v2 :: v_dual_mul_f32 v26, v8, v23
	v_dual_mul_f32 v22, v8, v18 :: v_dual_mul_f32 v17, v25, v17
	s_delay_alu instid0(VALU_DEP_2) | instskip(NEXT) | instid1(VALU_DEP_2)
	v_mul_f32_e32 v26, v26, v6
	v_div_scale_f32 v30, null, v15, v15, v17
	s_delay_alu instid0(VALU_DEP_2) | instskip(SKIP_3) | instid1(VALU_DEP_4)
	v_mul_f32_e32 v16, v16, v26
	v_dual_mul_f32 v26, v31, v24 :: v_dual_mul_f32 v23, v2, v23
	v_mul_f32_e32 v22, v22, v6
	v_mul_f32_e32 v2, 4.0, v2
	v_div_scale_f32 v25, null, v21, v21, v16
	s_delay_alu instid0(VALU_DEP_4) | instskip(NEXT) | instid1(VALU_DEP_4)
	v_mul_f32_e32 v23, v8, v23
	v_div_scale_f32 v29, null, v15, v15, v22
	v_fma_f32 v35, -v19, v26, v31
	s_delay_alu instid0(VALU_DEP_4) | instskip(NEXT) | instid1(VALU_DEP_3)
	v_rcp_f32_e32 v34, v25
	v_mul_f32_e32 v23, v23, v6
	s_delay_alu instid0(VALU_DEP_3) | instskip(SKIP_2) | instid1(VALU_DEP_3)
	v_rcp_f32_e32 v32, v29
	v_div_scale_f32 v36, s0, v22, v15, v22
	v_fmac_f32_e32 v26, v35, v24
	v_mul_f32_e32 v23, v27, v23
	s_delay_alu instid0(VALU_DEP_2)
	v_fma_f32 v19, -v19, v26, v31
	v_mul_f32_e32 v31, v6, v6
	s_waitcnt_depctr 0xfff
	v_fma_f32 v33, -v29, v32, 1.0
	v_fma_f32 v37, -v25, v34, 1.0
	v_mul_f32_e32 v6, v13, v6
	v_div_fmas_f32 v19, v19, v24, v26
	s_mov_b32 vcc_lo, s0
	v_fmac_f32_e32 v32, v33, v32
	v_rcp_f32_e32 v33, v30
	v_fma_f32 v6, v8, v3, -v6
	v_div_scale_f32 v24, null, v28, v28, v23
	v_fmac_f32_e32 v20, v12, v31
	v_mul_f32_e32 v35, v36, v32
	v_add_f32_e32 v3, v13, v3
	s_delay_alu instid0(VALU_DEP_4) | instskip(SKIP_2) | instid1(TRANS32_DEP_2)
	v_rcp_f32_e32 v31, v24
	v_mul_f32_e32 v2, v2, v6
	v_div_fixup_f32 v7, v19, v15, v7
	v_fma_f32 v27, -v30, v33, 1.0
	v_mul_f32_e32 v18, 0x40c00000, v18
	v_fma_f32 v26, -v29, v35, v36
	v_fmac_f32_e32 v34, v37, v34
	v_div_scale_f32 v39, null, v15, v15, v2
	v_fmac_f32_e32 v33, v27, v33
	s_delay_alu instid0(VALU_DEP_4) | instskip(SKIP_3) | instid1(VALU_DEP_4)
	v_fmac_f32_e32 v35, v26, v32
	v_fma_f32 v37, -v24, v31, 1.0
	v_mul_f32_e32 v18, v18, v20
	v_div_scale_f32 v19, s1, v16, v21, v16
	v_fma_f32 v8, -v29, v35, v36
	s_delay_alu instid0(VALU_DEP_4) | instskip(NEXT) | instid1(VALU_DEP_4)
	v_fmac_f32_e32 v31, v37, v31
	v_div_scale_f32 v26, null, v21, v21, v18
	v_div_scale_f32 v27, s2, v17, v15, v17
	s_delay_alu instid0(VALU_DEP_4) | instskip(NEXT) | instid1(VALU_DEP_3)
	v_div_fmas_f32 v8, v8, v32, v35
	v_rcp_f32_e32 v38, v26
	v_div_scale_f32 v6, s3, v23, v28, v23
	s_mov_b32 vcc_lo, s1
	v_div_scale_f32 v41, s4, v18, v21, v18
	s_delay_alu instid0(VALU_DEP_2) | instskip(SKIP_4) | instid1(VALU_DEP_1)
	v_mul_f32_e32 v40, v6, v31
	v_div_fixup_f32 v8, v8, v15, v22
	v_add_f32_e32 v11, v11, v7
	s_waitcnt_depctr 0xfff
	v_fma_f32 v37, -v26, v38, 1.0
	v_fmac_f32_e32 v38, v37, v38
	v_rcp_f32_e32 v37, v39
	v_mul_f32_e32 v36, v27, v33
	s_waitcnt_depctr 0xfff
	v_fma_f32 v32, -v39, v37, 1.0
	s_delay_alu instid0(VALU_DEP_1) | instskip(NEXT) | instid1(VALU_DEP_1)
	v_dual_mul_f32 v20, v19, v34 :: v_dual_fmac_f32 v37, v32, v37
	v_fma_f32 v29, -v25, v20, v19
	s_delay_alu instid0(VALU_DEP_1) | instskip(SKIP_1) | instid1(VALU_DEP_2)
	v_fmac_f32_e32 v20, v29, v34
	v_fma_f32 v29, -v30, v36, v27
	v_fma_f32 v19, -v25, v20, v19
	s_delay_alu instid0(VALU_DEP_2) | instskip(SKIP_2) | instid1(VALU_DEP_4)
	v_fmac_f32_e32 v36, v29, v33
	v_fma_f32 v25, -v24, v40, v6
	v_mul_f32_e32 v29, v41, v38
	v_div_fmas_f32 v19, v19, v34, v20
	s_delay_alu instid0(VALU_DEP_4)
	v_fma_f32 v20, -v30, v36, v27
	s_mov_b32 vcc_lo, s2
	v_fmac_f32_e32 v40, v25, v31
	v_fma_f32 v25, -v26, v29, v41
	v_div_fixup_f32 v13, v19, v21, v16
	v_div_fmas_f32 v20, v20, v33, v36
	s_mov_b32 vcc_lo, s3
	v_fma_f32 v6, -v24, v40, v6
	v_fmac_f32_e32 v29, v25, v38
	v_add_f32_e32 v3, v3, v13
	v_div_scale_f32 v27, s0, v2, v15, v2
	v_div_fixup_f32 v13, v20, v15, v17
	v_div_fmas_f32 v6, v6, v31, v40
	v_fma_f32 v12, -v26, v29, v41
	s_delay_alu instid0(VALU_DEP_4)
	v_mul_f32_e32 v24, v27, v37
	s_mov_b32 vcc_lo, s4
	v_add_f32_e32 v13, v13, v3
	v_div_fixup_f32 v6, v6, v28, v23
	v_div_fmas_f32 v12, v12, v38, v29
	v_fma_f32 v25, -v39, v24, v27
	s_mov_b32 vcc_lo, s0
	s_delay_alu instid0(VALU_DEP_3) | instskip(NEXT) | instid1(VALU_DEP_3)
	v_add_f32_e32 v5, v5, v6
	v_div_fixup_f32 v6, v12, v21, v18
	s_delay_alu instid0(VALU_DEP_3) | instskip(NEXT) | instid1(VALU_DEP_2)
	v_fmac_f32_e32 v24, v25, v37
	v_add_f32_e32 v5, v6, v5
	s_delay_alu instid0(VALU_DEP_2) | instskip(NEXT) | instid1(VALU_DEP_1)
	v_fma_f32 v14, -v39, v24, v27
	v_div_fmas_f32 v12, v14, v37, v24
	v_cmp_lt_f32_e32 vcc_lo, v10, v1
	s_delay_alu instid0(VALU_DEP_2) | instskip(SKIP_3) | instid1(VALU_DEP_4)
	v_div_fixup_f32 v2, v12, v15, v2
	v_cndmask_b32_e32 v10, v10, v1, vcc_lo
	v_add_f32_e32 v12, v4, v8
	v_mov_b32_e32 v8, v15
	v_add_f32_e32 v14, v2, v5
.LBB34_125:
	s_or_b32 exec_lo, exec_lo, s6
.LBB34_126:
	s_delay_alu instid0(SALU_CYCLE_1)
	s_or_b32 exec_lo, exec_lo, s5
.LBB34_127:
	s_delay_alu instid0(SALU_CYCLE_1)
	s_mov_b32 s5, exec_lo
                                        ; implicit-def: $vgpr7
                                        ; implicit-def: $vgpr4
	v_cmpx_eq_u32_e32 0, v0
	s_cbranch_execz .LBB34_131
; %bb.128:
	s_waitcnt lgkmcnt(5)
	v_dual_mov_b32 v7, s18 :: v_dual_mov_b32 v6, s17
	s_waitcnt lgkmcnt(0)
	v_dual_mov_b32 v5, s16 :: v_dual_mov_b32 v4, s15
	v_dual_mov_b32 v3, s14 :: v_dual_mov_b32 v2, s13
	v_mov_b32_e32 v1, s12
	s_cmp_eq_u64 s[8:9], 0
	s_cbranch_scc1 .LBB34_130
; %bb.129:
	v_dual_subrev_f32 v0, s15, v11 :: v_dual_add_f32 v1, s12, v8
	v_cmp_gt_f32_e32 vcc_lo, s13, v9
	v_mul_f32_e32 v11, v8, v8
	s_delay_alu instid0(VALU_DEP_3) | instskip(SKIP_3) | instid1(VALU_DEP_4)
	v_dual_mul_f32 v3, v0, v8 :: v_dual_mul_f32 v18, v1, v1
	v_cndmask_b32_e32 v2, s13, v9, vcc_lo
	v_mul_f32_e32 v19, 0x40400000, v0
	v_mul_f32_e64 v9, s12, s12
	v_div_scale_f32 v7, null, v1, v1, v3
	v_div_scale_f32 v24, vcc_lo, v3, v1, v3
	s_delay_alu instid0(VALU_DEP_3) | instskip(NEXT) | instid1(VALU_DEP_3)
	v_fma_f32 v21, -s12, v8, v9
	v_rcp_f32_e32 v17, v7
	v_mul_f32_e32 v11, s16, v11
	s_delay_alu instid0(VALU_DEP_2) | instskip(SKIP_2) | instid1(VALU_DEP_1)
	v_fmac_f32_e32 v21, v8, v8
	s_waitcnt_depctr 0xfff
	v_fma_f32 v23, -v7, v17, 1.0
	v_dual_mul_f32 v6, v0, v0 :: v_dual_fmac_f32 v17, v23, v17
	s_delay_alu instid0(VALU_DEP_1) | instskip(SKIP_1) | instid1(VALU_DEP_2)
	v_dual_sub_f32 v4, s12, v8 :: v_dual_mul_f32 v15, s12, v6
	v_dual_mul_f32 v5, s16, v8 :: v_dual_mul_f32 v16, v0, v6
	v_mul_f32_e32 v15, v15, v8
	s_delay_alu instid0(VALU_DEP_2) | instskip(NEXT) | instid1(VALU_DEP_3)
	v_fma_f32 v5, s12, v12, -v5
	v_mul_f32_e32 v20, s12, v16
	s_delay_alu instid0(VALU_DEP_3) | instskip(SKIP_1) | instid1(VALU_DEP_2)
	v_div_scale_f32 v22, null, v1, v1, v15
	v_div_scale_f32 v29, s0, v15, v1, v15
	v_rcp_f32_e32 v25, v22
	s_waitcnt_depctr 0xfff
	v_fma_f32 v26, -v22, v25, 1.0
	s_delay_alu instid0(VALU_DEP_1) | instskip(NEXT) | instid1(VALU_DEP_1)
	v_dual_mul_f32 v20, v8, v20 :: v_dual_fmac_f32 v25, v26, v25
	v_mul_f32_e32 v4, v4, v20
	v_dual_mul_f32 v20, v1, v18 :: v_dual_mul_f32 v5, v19, v5
	s_delay_alu instid0(VALU_DEP_2) | instskip(NEXT) | instid1(VALU_DEP_2)
	v_div_scale_f32 v19, null, v18, v18, v4
	v_div_scale_f32 v26, null, v1, v1, v5
	s_delay_alu instid0(VALU_DEP_2) | instskip(SKIP_2) | instid1(VALU_DEP_1)
	v_rcp_f32_e32 v27, v19
	s_waitcnt_depctr 0xfff
	v_fma_f32 v30, -v19, v27, 1.0
	v_dual_mul_f32 v16, v0, v16 :: v_dual_fmac_f32 v27, v30, v27
	s_delay_alu instid0(VALU_DEP_1) | instskip(SKIP_1) | instid1(VALU_DEP_2)
	v_dual_mul_f32 v23, v24, v17 :: v_dual_mul_f32 v16, s12, v16
	v_mul_f32_e32 v0, 4.0, v0
	v_fma_f32 v28, -v7, v23, v24
	s_delay_alu instid0(VALU_DEP_3) | instskip(NEXT) | instid1(VALU_DEP_1)
	v_mul_f32_e32 v16, v8, v16
	v_dual_fmac_f32 v23, v28, v17 :: v_dual_mul_f32 v16, v21, v16
	v_mul_f32_e32 v28, v29, v25
	s_delay_alu instid0(VALU_DEP_2) | instskip(SKIP_1) | instid1(VALU_DEP_2)
	v_fma_f32 v7, -v7, v23, v24
	v_rcp_f32_e32 v24, v26
	v_fma_f32 v21, -v22, v28, v29
	s_delay_alu instid0(VALU_DEP_2) | instskip(SKIP_2) | instid1(VALU_DEP_3)
	v_div_fmas_f32 v7, v7, v17, v23
	v_div_scale_f32 v17, null, v20, v20, v16
	s_mov_b32 vcc_lo, s0
	v_fmac_f32_e32 v28, v21, v25
	s_delay_alu instid0(VALU_DEP_3) | instskip(NEXT) | instid1(VALU_DEP_3)
	v_div_fixup_f32 v7, v7, v1, v3
	v_rcp_f32_e32 v23, v17
	v_mul_f32_e32 v3, 0x40c00000, v6
	v_div_scale_f32 v6, s1, v4, v18, v4
	v_div_scale_f32 v21, s2, v5, v1, v5
	v_fma_f32 v22, -v22, v28, v29
	s_waitcnt_depctr 0xfff
	v_fma_f32 v30, -v17, v23, 1.0
	v_mul_f32_e32 v8, s17, v8
	v_div_fmas_f32 v22, v22, v25, v28
	s_mov_b32 vcc_lo, s1
	s_delay_alu instid0(VALU_DEP_3) | instskip(NEXT) | instid1(VALU_DEP_3)
	v_fmac_f32_e32 v23, v30, v23
	v_fma_f32 v8, s12, v13, -v8
	s_delay_alu instid0(VALU_DEP_1) | instskip(SKIP_4) | instid1(VALU_DEP_4)
	v_dual_add_f32 v13, s17, v13 :: v_dual_mul_f32 v0, v0, v8
	v_div_scale_f32 v8, s3, v16, v20, v16
	v_fmac_f32_e32 v11, v9, v12
	v_fma_f32 v9, -v26, v24, 1.0
	v_add_f32_e32 v12, s16, v12
	v_mul_f32_e32 v34, v8, v23
	s_delay_alu instid0(VALU_DEP_4) | instskip(NEXT) | instid1(VALU_DEP_4)
	v_mul_f32_e32 v3, v3, v11
	v_dual_mul_f32 v11, v6, v27 :: v_dual_fmac_f32 v24, v9, v24
	s_delay_alu instid0(VALU_DEP_2) | instskip(SKIP_1) | instid1(VALU_DEP_3)
	v_div_scale_f32 v9, null, v18, v18, v3
	v_div_scale_f32 v35, s4, v3, v18, v3
	v_fma_f32 v29, -v19, v11, v6
	s_delay_alu instid0(VALU_DEP_3) | instskip(NEXT) | instid1(VALU_DEP_1)
	v_rcp_f32_e32 v31, v9
	v_fmac_f32_e32 v11, v29, v27
	s_delay_alu instid0(VALU_DEP_1)
	v_fma_f32 v6, -v19, v11, v6
	s_waitcnt_depctr 0xfff
	v_fma_f32 v30, -v9, v31, 1.0
	v_mul_f32_e32 v32, v21, v24
	v_fma_f32 v19, -v17, v34, v8
	v_div_fmas_f32 v6, v6, v27, v11
	s_delay_alu instid0(VALU_DEP_4) | instskip(NEXT) | instid1(VALU_DEP_4)
	v_fmac_f32_e32 v31, v30, v31
	v_fma_f32 v29, -v26, v32, v21
	s_delay_alu instid0(VALU_DEP_4)
	v_fmac_f32_e32 v34, v19, v23
	s_mov_b32 vcc_lo, s2
	v_div_fixup_f32 v4, v6, v18, v4
	v_mul_f32_e32 v25, v35, v31
	v_div_scale_f32 v33, null, v1, v1, v0
	v_fma_f32 v8, -v17, v34, v8
	s_delay_alu instid0(VALU_DEP_4) | instskip(NEXT) | instid1(VALU_DEP_3)
	v_dual_add_f32 v14, s18, v14 :: v_dual_add_f32 v13, v13, v4
	v_rcp_f32_e32 v30, v33
	v_fma_f32 v19, -v9, v25, v35
	s_delay_alu instid0(VALU_DEP_1) | instskip(NEXT) | instid1(VALU_DEP_1)
	v_dual_fmac_f32 v32, v29, v24 :: v_dual_fmac_f32 v25, v19, v31
	v_fma_f32 v11, -v26, v32, v21
	v_div_scale_f32 v21, s0, v0, v1, v0
	s_waitcnt_depctr 0xfff
	v_fma_f32 v28, -v33, v30, 1.0
	v_fma_f32 v9, -v9, v25, v35
	v_div_fmas_f32 v11, v11, v24, v32
	s_mov_b32 vcc_lo, s3
	s_delay_alu instid0(VALU_DEP_3)
	v_fmac_f32_e32 v30, v28, v30
	v_div_fmas_f32 v8, v8, v23, v34
	s_mov_b32 vcc_lo, s4
	v_div_fixup_f32 v11, v11, v1, v5
	v_div_fmas_f32 v9, v9, v31, v25
	v_mul_f32_e32 v17, v21, v30
	v_div_fixup_f32 v8, v8, v20, v16
	s_mov_b32 vcc_lo, s0
	s_delay_alu instid0(VALU_DEP_3) | instskip(NEXT) | instid1(VALU_DEP_3)
	v_div_fixup_f32 v3, v9, v18, v3
	v_fma_f32 v19, -v33, v17, v21
	s_delay_alu instid0(VALU_DEP_3) | instskip(SKIP_1) | instid1(VALU_DEP_3)
	v_add_f32_e32 v8, v14, v8
	v_div_fixup_f32 v9, v22, v1, v15
	v_dual_add_f32 v4, s15, v7 :: v_dual_fmac_f32 v17, v19, v30
	s_delay_alu instid0(VALU_DEP_2) | instskip(NEXT) | instid1(VALU_DEP_2)
	v_add_f32_e32 v5, v12, v9
	v_fma_f32 v6, -v33, v17, v21
	s_delay_alu instid0(VALU_DEP_1) | instskip(SKIP_2) | instid1(VALU_DEP_3)
	v_div_fmas_f32 v6, v6, v30, v17
	v_cmp_lt_f32_e32 vcc_lo, s14, v10
	v_add_f32_e32 v8, v3, v8
	v_div_fixup_f32 v0, v6, v1, v0
	v_dual_cndmask_b32 v3, s14, v10 :: v_dual_add_f32 v6, v11, v13
	s_delay_alu instid0(VALU_DEP_2)
	v_add_f32_e32 v7, v0, v8
.LBB34_130:
	s_or_b32 s19, s19, exec_lo
.LBB34_131:
	s_or_b32 exec_lo, exec_lo, s5
	s_and_saveexec_b32 s0, s19
	s_cbranch_execz .LBB34_102
.LBB34_132:
	s_mul_i32 s0, s21, 28
	s_mul_hi_u32 s1, s20, 28
	s_mul_i32 s2, s20, 28
	v_mov_b32_e32 v0, 0
	s_add_i32 s1, s1, s0
	s_add_u32 s0, s10, s2
	s_addc_u32 s1, s11, s1
	s_waitcnt lgkmcnt(0)
	s_clause 0x1
	global_store_b128 v0, v[1:4], s[0:1]
	global_store_b96 v0, v[5:7], s[0:1] offset:16
	s_nop 0
	s_sendmsg sendmsg(MSG_DEALLOC_VGPRS)
	s_endpgm
.LBB34_133:
	v_dual_sub_f32 v4, v3, v11 :: v_dual_mov_b32 v7, 0
	v_cmp_lt_f32_e64 s1, v3, v11
	s_delay_alu instid0(VALU_DEP_2) | instskip(SKIP_2) | instid1(VALU_DEP_1)
	v_mul_f32_e32 v5, v4, v4
	v_mul_f32_e32 v10, 0x40400000, v4
	v_mul_f32_e32 v12, 4.0, v4
	v_dual_mul_f32 v6, v4, v5 :: v_dual_mul_f32 v15, 0, v12
	s_delay_alu instid0(VALU_DEP_1) | instskip(NEXT) | instid1(VALU_DEP_1)
	v_mul_f32_e32 v9, v4, v6
	v_dual_fmamk_f32 v14, v9, 0x3e000000, v7 :: v_dual_mul_f32 v7, 0, v10
	v_mul_f32_e32 v6, 0, v6
	v_mul_f32_e32 v8, 0x40c00000, v5
	v_cndmask_b32_e64 v9, v11, v3, s1
	v_cmp_lt_f32_e64 s1, v11, v3
	v_mul_f32_e32 v12, 0.5, v5
	v_fma_f32 v13, 0x3e800000, v6, 0
	v_mul_f32_e32 v8, 0, v8
	s_delay_alu instid0(VALU_DEP_4) | instskip(SKIP_1) | instid1(VALU_DEP_3)
	v_cndmask_b32_e64 v10, v11, v3, s1
	v_fmac_f32_e32 v11, 0.5, v4
	v_dual_fmac_f32 v13, 0.5, v7 :: v_dual_fmac_f32 v14, 0x3e800000, v8
	v_mov_b32_e32 v8, 2.0
	s_delay_alu instid0(VALU_DEP_2)
	v_fmac_f32_e32 v14, 0.5, v15
	s_or_b32 exec_lo, exec_lo, s2
	s_and_saveexec_b32 s6, vcc_lo
	s_cbranch_execz .LBB34_31
.LBB34_134:
	v_sub_f32_e32 v3, v2, v11
	v_cmp_lt_f32_e32 vcc_lo, v2, v9
	v_fma_f32 v19, v8, v8, -v8
	v_dual_add_f32 v15, -1.0, v8 :: v_dual_add_f32 v14, 0, v14
	s_delay_alu instid0(VALU_DEP_4) | instskip(SKIP_1) | instid1(VALU_DEP_2)
	v_dual_mul_f32 v4, v3, v3 :: v_dual_add_f32 v5, 1.0, v8
	v_dual_cndmask_b32 v9, v9, v2 :: v_dual_mul_f32 v18, v8, v8
	v_mul_f32_e32 v6, v4, v8
	s_delay_alu instid0(VALU_DEP_3) | instskip(SKIP_1) | instid1(VALU_DEP_3)
	v_div_scale_f32 v7, null, v5, v5, v3
	v_div_scale_f32 v22, vcc_lo, v3, v5, v3
	v_div_scale_f32 v16, null, v5, v5, v6
	s_delay_alu instid0(VALU_DEP_3) | instskip(SKIP_1) | instid1(VALU_DEP_2)
	v_rcp_f32_e32 v17, v7
	v_dual_mul_f32 v21, v5, v5 :: v_dual_mul_f32 v24, 4.0, v3
	v_rcp_f32_e32 v20, v16
	s_delay_alu instid0(VALU_DEP_1) | instskip(NEXT) | instid1(VALU_DEP_2)
	v_dual_mul_f32 v23, 0x40400000, v3 :: v_dual_mul_f32 v26, v5, v21
	v_mul_f32_e64 v24, v24, -v13
	s_delay_alu instid0(VALU_DEP_2) | instskip(SKIP_4) | instid1(VALU_DEP_3)
	v_mul_f32_e64 v23, -v12, v23
	s_waitcnt_depctr 0xfff
	v_fma_f32 v25, -v7, v17, 1.0
	v_div_scale_f32 v34, null, v5, v5, v24
	v_fma_f32 v28, -v16, v20, 1.0
	v_fmac_f32_e32 v17, v25, v17
	v_add_f32_e32 v19, 1.0, v19
	v_mul_f32_e32 v27, v3, v4
	v_div_scale_f32 v25, s1, v6, v5, v6
	v_fmac_f32_e32 v20, v28, v20
	v_mul_f32_e32 v4, 0x40c00000, v4
	s_delay_alu instid0(VALU_DEP_4) | instskip(SKIP_1) | instid1(VALU_DEP_4)
	v_dual_mul_f32 v28, v22, v17 :: v_dual_mul_f32 v29, v3, v27
	v_div_scale_f32 v32, null, v5, v5, v23
	v_mul_f32_e32 v30, v25, v20
	s_delay_alu instid0(VALU_DEP_3) | instskip(SKIP_1) | instid1(VALU_DEP_3)
	v_fma_f32 v31, -v7, v28, v22
	v_mul_f32_e32 v27, v8, v27
	v_fma_f32 v33, -v16, v30, v25
	s_delay_alu instid0(VALU_DEP_3) | instskip(NEXT) | instid1(VALU_DEP_3)
	v_fmac_f32_e32 v28, v31, v17
	v_mul_f32_e32 v15, v15, v27
	v_rcp_f32_e32 v27, v32
	v_mul_f32_e32 v8, v8, v29
	v_fmac_f32_e32 v30, v33, v20
	v_fma_f32 v7, -v7, v28, v22
	v_rcp_f32_e32 v22, v34
	s_delay_alu instid0(VALU_DEP_2) | instskip(NEXT) | instid1(VALU_DEP_2)
	v_fma_f32 v16, -v16, v30, v25
	v_div_fmas_f32 v7, v7, v17, v28
	s_mov_b32 vcc_lo, s1
	v_div_scale_f32 v17, null, v21, v21, v15
	s_delay_alu instid0(VALU_DEP_3) | instskip(SKIP_2) | instid1(VALU_DEP_3)
	v_div_fmas_f32 v16, v16, v20, v30
	v_div_scale_f32 v29, vcc_lo, v15, v21, v15
	v_div_scale_f32 v20, s1, v23, v5, v23
	v_div_fixup_f32 v6, v16, v5, v6
	v_rcp_f32_e32 v16, v17
	v_div_scale_f32 v28, s2, v24, v5, v24
	s_delay_alu instid0(VALU_DEP_2) | instskip(SKIP_2) | instid1(VALU_DEP_2)
	v_add_f32_e32 v6, v12, v6
	v_fmac_f32_e32 v12, 0, v18
	v_fma_f32 v18, -v34, v22, 1.0
	v_mul_f32_e32 v4, v4, v12
	s_delay_alu instid0(VALU_DEP_2) | instskip(NEXT) | instid1(TRANS32_DEP_1)
	v_fmac_f32_e32 v22, v18, v22
	v_fma_f32 v18, -v17, v16, 1.0
	s_delay_alu instid0(VALU_DEP_1) | instskip(SKIP_2) | instid1(VALU_DEP_3)
	v_fmac_f32_e32 v16, v18, v16
	v_mul_f32_e32 v8, v8, v19
	v_fma_f32 v19, -v32, v27, 1.0
	v_mul_f32_e32 v35, v29, v16
	s_delay_alu instid0(VALU_DEP_3) | instskip(NEXT) | instid1(VALU_DEP_3)
	v_div_scale_f32 v25, null, v26, v26, v8
	v_fmac_f32_e32 v27, v19, v27
	v_div_scale_f32 v19, null, v21, v21, v4
	s_delay_alu instid0(VALU_DEP_3) | instskip(SKIP_1) | instid1(VALU_DEP_3)
	v_rcp_f32_e32 v12, v25
	v_div_scale_f32 v37, s3, v8, v26, v8
	v_mul_f32_e32 v18, v20, v27
	s_delay_alu instid0(VALU_DEP_3) | instskip(NEXT) | instid1(VALU_DEP_1)
	v_rcp_f32_e32 v31, v19
	v_fma_f32 v36, -v32, v18, v20
	s_waitcnt_depctr 0xfff
	v_fma_f32 v33, -v25, v12, 1.0
	v_fmac_f32_e32 v18, v36, v27
	v_fma_f32 v36, -v19, v31, 1.0
	s_delay_alu instid0(VALU_DEP_3) | instskip(SKIP_1) | instid1(VALU_DEP_4)
	v_fmac_f32_e32 v12, v33, v12
	v_fma_f32 v33, -v17, v35, v29
	v_fma_f32 v20, -v32, v18, v20
	s_delay_alu instid0(VALU_DEP_4) | instskip(NEXT) | instid1(VALU_DEP_4)
	v_fmac_f32_e32 v31, v36, v31
	v_dual_mul_f32 v30, v28, v22 :: v_dual_mul_f32 v39, v37, v12
	s_delay_alu instid0(VALU_DEP_4) | instskip(SKIP_1) | instid1(VALU_DEP_3)
	v_fmac_f32_e32 v35, v33, v16
	v_div_scale_f32 v33, s4, v4, v21, v4
	v_fma_f32 v38, -v34, v30, v28
	s_delay_alu instid0(VALU_DEP_4) | instskip(NEXT) | instid1(VALU_DEP_4)
	v_fma_f32 v36, -v25, v39, v37
	v_fma_f32 v17, -v17, v35, v29
	s_delay_alu instid0(VALU_DEP_3) | instskip(NEXT) | instid1(VALU_DEP_3)
	v_dual_mul_f32 v29, v33, v31 :: v_dual_fmac_f32 v30, v38, v22
	v_fmac_f32_e32 v39, v36, v12
	s_delay_alu instid0(VALU_DEP_3) | instskip(NEXT) | instid1(VALU_DEP_3)
	v_div_fmas_f32 v16, v17, v16, v35
	v_fma_f32 v17, -v19, v29, v33
	s_mov_b32 vcc_lo, s1
	s_delay_alu instid0(VALU_DEP_3) | instskip(SKIP_1) | instid1(VALU_DEP_3)
	v_fma_f32 v25, -v25, v39, v37
	v_div_fmas_f32 v18, v20, v27, v18
	v_fmac_f32_e32 v29, v17, v31
	s_mov_b32 vcc_lo, s3
	v_div_fixup_f32 v15, v16, v21, v15
	v_div_fmas_f32 v12, v25, v12, v39
	v_div_fixup_f32 v17, v18, v5, v23
	v_fma_f32 v18, -v19, v29, v33
	s_mov_b32 vcc_lo, s4
	v_fma_f32 v16, -v34, v30, v28
	v_div_fixup_f32 v8, v12, v26, v8
	v_add_f32_e32 v12, v13, v15
	v_div_fmas_f32 v13, v18, v31, v29
	s_mov_b32 vcc_lo, s2
	s_delay_alu instid0(VALU_DEP_3) | instskip(SKIP_1) | instid1(VALU_DEP_3)
	v_add_f32_e32 v8, v14, v8
	v_div_fmas_f32 v14, v16, v22, v30
	v_div_fixup_f32 v4, v13, v21, v4
	v_cmp_lt_f32_e32 vcc_lo, v10, v2
	v_dual_add_f32 v13, v17, v12 :: v_dual_mov_b32 v12, v6
	s_delay_alu instid0(VALU_DEP_3) | instskip(SKIP_3) | instid1(VALU_DEP_2)
	v_add_f32_e32 v4, v4, v8
	v_cndmask_b32_e32 v10, v10, v2, vcc_lo
	v_div_fixup_f32 v2, v7, v5, v3
	v_div_fixup_f32 v3, v14, v5, v24
	v_dual_mov_b32 v8, v5 :: v_dual_add_f32 v11, v11, v2
	s_delay_alu instid0(VALU_DEP_2)
	v_add_f32_e32 v14, v3, v4
	s_or_b32 exec_lo, exec_lo, s6
	s_and_saveexec_b32 s6, s0
	s_cbranch_execnz .LBB34_32
	s_branch .LBB34_33
	.section	.rodata,"a",@progbits
	.p2align	6, 0x0
	.amdhsa_kernel _ZN7rocprim17ROCPRIM_400000_NS6detail17trampoline_kernelINS0_14default_configENS1_22reduce_config_selectorI18summary_stats_dataIfEEEZNS1_11reduce_implILb1ES3_N6thrust23THRUST_200600_302600_NS11hip_rocprim26transform_input_iterator_tIS6_NSA_6detail15normal_iteratorINSA_10device_ptrIfEEEE22summary_stats_unary_opIfEEEPS6_S6_23summary_stats_binary_opIfEEE10hipError_tPvRmT1_T2_T3_mT4_P12ihipStream_tbEUlT_E1_NS1_11comp_targetILNS1_3genE9ELNS1_11target_archE1100ELNS1_3gpuE3ELNS1_3repE0EEENS1_30default_config_static_selectorELNS0_4arch9wavefront6targetE0EEEvSR_
		.amdhsa_group_segment_fixed_size 896
		.amdhsa_private_segment_fixed_size 0
		.amdhsa_kernarg_size 72
		.amdhsa_user_sgpr_count 15
		.amdhsa_user_sgpr_dispatch_ptr 0
		.amdhsa_user_sgpr_queue_ptr 0
		.amdhsa_user_sgpr_kernarg_segment_ptr 1
		.amdhsa_user_sgpr_dispatch_id 0
		.amdhsa_user_sgpr_private_segment_size 0
		.amdhsa_wavefront_size32 1
		.amdhsa_uses_dynamic_stack 0
		.amdhsa_enable_private_segment 0
		.amdhsa_system_sgpr_workgroup_id_x 1
		.amdhsa_system_sgpr_workgroup_id_y 0
		.amdhsa_system_sgpr_workgroup_id_z 0
		.amdhsa_system_sgpr_workgroup_info 0
		.amdhsa_system_vgpr_workitem_id 0
		.amdhsa_next_free_vgpr 77
		.amdhsa_next_free_sgpr 29
		.amdhsa_reserve_vcc 1
		.amdhsa_float_round_mode_32 0
		.amdhsa_float_round_mode_16_64 0
		.amdhsa_float_denorm_mode_32 3
		.amdhsa_float_denorm_mode_16_64 3
		.amdhsa_dx10_clamp 1
		.amdhsa_ieee_mode 1
		.amdhsa_fp16_overflow 0
		.amdhsa_workgroup_processor_mode 1
		.amdhsa_memory_ordered 1
		.amdhsa_forward_progress 0
		.amdhsa_shared_vgpr_count 0
		.amdhsa_exception_fp_ieee_invalid_op 0
		.amdhsa_exception_fp_denorm_src 0
		.amdhsa_exception_fp_ieee_div_zero 0
		.amdhsa_exception_fp_ieee_overflow 0
		.amdhsa_exception_fp_ieee_underflow 0
		.amdhsa_exception_fp_ieee_inexact 0
		.amdhsa_exception_int_div_zero 0
	.end_amdhsa_kernel
	.section	.text._ZN7rocprim17ROCPRIM_400000_NS6detail17trampoline_kernelINS0_14default_configENS1_22reduce_config_selectorI18summary_stats_dataIfEEEZNS1_11reduce_implILb1ES3_N6thrust23THRUST_200600_302600_NS11hip_rocprim26transform_input_iterator_tIS6_NSA_6detail15normal_iteratorINSA_10device_ptrIfEEEE22summary_stats_unary_opIfEEEPS6_S6_23summary_stats_binary_opIfEEE10hipError_tPvRmT1_T2_T3_mT4_P12ihipStream_tbEUlT_E1_NS1_11comp_targetILNS1_3genE9ELNS1_11target_archE1100ELNS1_3gpuE3ELNS1_3repE0EEENS1_30default_config_static_selectorELNS0_4arch9wavefront6targetE0EEEvSR_,"axG",@progbits,_ZN7rocprim17ROCPRIM_400000_NS6detail17trampoline_kernelINS0_14default_configENS1_22reduce_config_selectorI18summary_stats_dataIfEEEZNS1_11reduce_implILb1ES3_N6thrust23THRUST_200600_302600_NS11hip_rocprim26transform_input_iterator_tIS6_NSA_6detail15normal_iteratorINSA_10device_ptrIfEEEE22summary_stats_unary_opIfEEEPS6_S6_23summary_stats_binary_opIfEEE10hipError_tPvRmT1_T2_T3_mT4_P12ihipStream_tbEUlT_E1_NS1_11comp_targetILNS1_3genE9ELNS1_11target_archE1100ELNS1_3gpuE3ELNS1_3repE0EEENS1_30default_config_static_selectorELNS0_4arch9wavefront6targetE0EEEvSR_,comdat
.Lfunc_end34:
	.size	_ZN7rocprim17ROCPRIM_400000_NS6detail17trampoline_kernelINS0_14default_configENS1_22reduce_config_selectorI18summary_stats_dataIfEEEZNS1_11reduce_implILb1ES3_N6thrust23THRUST_200600_302600_NS11hip_rocprim26transform_input_iterator_tIS6_NSA_6detail15normal_iteratorINSA_10device_ptrIfEEEE22summary_stats_unary_opIfEEEPS6_S6_23summary_stats_binary_opIfEEE10hipError_tPvRmT1_T2_T3_mT4_P12ihipStream_tbEUlT_E1_NS1_11comp_targetILNS1_3genE9ELNS1_11target_archE1100ELNS1_3gpuE3ELNS1_3repE0EEENS1_30default_config_static_selectorELNS0_4arch9wavefront6targetE0EEEvSR_, .Lfunc_end34-_ZN7rocprim17ROCPRIM_400000_NS6detail17trampoline_kernelINS0_14default_configENS1_22reduce_config_selectorI18summary_stats_dataIfEEEZNS1_11reduce_implILb1ES3_N6thrust23THRUST_200600_302600_NS11hip_rocprim26transform_input_iterator_tIS6_NSA_6detail15normal_iteratorINSA_10device_ptrIfEEEE22summary_stats_unary_opIfEEEPS6_S6_23summary_stats_binary_opIfEEE10hipError_tPvRmT1_T2_T3_mT4_P12ihipStream_tbEUlT_E1_NS1_11comp_targetILNS1_3genE9ELNS1_11target_archE1100ELNS1_3gpuE3ELNS1_3repE0EEENS1_30default_config_static_selectorELNS0_4arch9wavefront6targetE0EEEvSR_
                                        ; -- End function
	.section	.AMDGPU.csdata,"",@progbits
; Kernel info:
; codeLenInByte = 54084
; NumSgprs: 31
; NumVgprs: 77
; ScratchSize: 0
; MemoryBound: 0
; FloatMode: 240
; IeeeMode: 1
; LDSByteSize: 896 bytes/workgroup (compile time only)
; SGPRBlocks: 3
; VGPRBlocks: 9
; NumSGPRsForWavesPerEU: 31
; NumVGPRsForWavesPerEU: 77
; Occupancy: 16
; WaveLimiterHint : 1
; COMPUTE_PGM_RSRC2:SCRATCH_EN: 0
; COMPUTE_PGM_RSRC2:USER_SGPR: 15
; COMPUTE_PGM_RSRC2:TRAP_HANDLER: 0
; COMPUTE_PGM_RSRC2:TGID_X_EN: 1
; COMPUTE_PGM_RSRC2:TGID_Y_EN: 0
; COMPUTE_PGM_RSRC2:TGID_Z_EN: 0
; COMPUTE_PGM_RSRC2:TIDIG_COMP_CNT: 0
	.section	.text._ZN7rocprim17ROCPRIM_400000_NS6detail17trampoline_kernelINS0_14default_configENS1_22reduce_config_selectorI18summary_stats_dataIfEEEZNS1_11reduce_implILb1ES3_N6thrust23THRUST_200600_302600_NS11hip_rocprim26transform_input_iterator_tIS6_NSA_6detail15normal_iteratorINSA_10device_ptrIfEEEE22summary_stats_unary_opIfEEEPS6_S6_23summary_stats_binary_opIfEEE10hipError_tPvRmT1_T2_T3_mT4_P12ihipStream_tbEUlT_E1_NS1_11comp_targetILNS1_3genE8ELNS1_11target_archE1030ELNS1_3gpuE2ELNS1_3repE0EEENS1_30default_config_static_selectorELNS0_4arch9wavefront6targetE0EEEvSR_,"axG",@progbits,_ZN7rocprim17ROCPRIM_400000_NS6detail17trampoline_kernelINS0_14default_configENS1_22reduce_config_selectorI18summary_stats_dataIfEEEZNS1_11reduce_implILb1ES3_N6thrust23THRUST_200600_302600_NS11hip_rocprim26transform_input_iterator_tIS6_NSA_6detail15normal_iteratorINSA_10device_ptrIfEEEE22summary_stats_unary_opIfEEEPS6_S6_23summary_stats_binary_opIfEEE10hipError_tPvRmT1_T2_T3_mT4_P12ihipStream_tbEUlT_E1_NS1_11comp_targetILNS1_3genE8ELNS1_11target_archE1030ELNS1_3gpuE2ELNS1_3repE0EEENS1_30default_config_static_selectorELNS0_4arch9wavefront6targetE0EEEvSR_,comdat
	.protected	_ZN7rocprim17ROCPRIM_400000_NS6detail17trampoline_kernelINS0_14default_configENS1_22reduce_config_selectorI18summary_stats_dataIfEEEZNS1_11reduce_implILb1ES3_N6thrust23THRUST_200600_302600_NS11hip_rocprim26transform_input_iterator_tIS6_NSA_6detail15normal_iteratorINSA_10device_ptrIfEEEE22summary_stats_unary_opIfEEEPS6_S6_23summary_stats_binary_opIfEEE10hipError_tPvRmT1_T2_T3_mT4_P12ihipStream_tbEUlT_E1_NS1_11comp_targetILNS1_3genE8ELNS1_11target_archE1030ELNS1_3gpuE2ELNS1_3repE0EEENS1_30default_config_static_selectorELNS0_4arch9wavefront6targetE0EEEvSR_ ; -- Begin function _ZN7rocprim17ROCPRIM_400000_NS6detail17trampoline_kernelINS0_14default_configENS1_22reduce_config_selectorI18summary_stats_dataIfEEEZNS1_11reduce_implILb1ES3_N6thrust23THRUST_200600_302600_NS11hip_rocprim26transform_input_iterator_tIS6_NSA_6detail15normal_iteratorINSA_10device_ptrIfEEEE22summary_stats_unary_opIfEEEPS6_S6_23summary_stats_binary_opIfEEE10hipError_tPvRmT1_T2_T3_mT4_P12ihipStream_tbEUlT_E1_NS1_11comp_targetILNS1_3genE8ELNS1_11target_archE1030ELNS1_3gpuE2ELNS1_3repE0EEENS1_30default_config_static_selectorELNS0_4arch9wavefront6targetE0EEEvSR_
	.globl	_ZN7rocprim17ROCPRIM_400000_NS6detail17trampoline_kernelINS0_14default_configENS1_22reduce_config_selectorI18summary_stats_dataIfEEEZNS1_11reduce_implILb1ES3_N6thrust23THRUST_200600_302600_NS11hip_rocprim26transform_input_iterator_tIS6_NSA_6detail15normal_iteratorINSA_10device_ptrIfEEEE22summary_stats_unary_opIfEEEPS6_S6_23summary_stats_binary_opIfEEE10hipError_tPvRmT1_T2_T3_mT4_P12ihipStream_tbEUlT_E1_NS1_11comp_targetILNS1_3genE8ELNS1_11target_archE1030ELNS1_3gpuE2ELNS1_3repE0EEENS1_30default_config_static_selectorELNS0_4arch9wavefront6targetE0EEEvSR_
	.p2align	8
	.type	_ZN7rocprim17ROCPRIM_400000_NS6detail17trampoline_kernelINS0_14default_configENS1_22reduce_config_selectorI18summary_stats_dataIfEEEZNS1_11reduce_implILb1ES3_N6thrust23THRUST_200600_302600_NS11hip_rocprim26transform_input_iterator_tIS6_NSA_6detail15normal_iteratorINSA_10device_ptrIfEEEE22summary_stats_unary_opIfEEEPS6_S6_23summary_stats_binary_opIfEEE10hipError_tPvRmT1_T2_T3_mT4_P12ihipStream_tbEUlT_E1_NS1_11comp_targetILNS1_3genE8ELNS1_11target_archE1030ELNS1_3gpuE2ELNS1_3repE0EEENS1_30default_config_static_selectorELNS0_4arch9wavefront6targetE0EEEvSR_,@function
_ZN7rocprim17ROCPRIM_400000_NS6detail17trampoline_kernelINS0_14default_configENS1_22reduce_config_selectorI18summary_stats_dataIfEEEZNS1_11reduce_implILb1ES3_N6thrust23THRUST_200600_302600_NS11hip_rocprim26transform_input_iterator_tIS6_NSA_6detail15normal_iteratorINSA_10device_ptrIfEEEE22summary_stats_unary_opIfEEEPS6_S6_23summary_stats_binary_opIfEEE10hipError_tPvRmT1_T2_T3_mT4_P12ihipStream_tbEUlT_E1_NS1_11comp_targetILNS1_3genE8ELNS1_11target_archE1030ELNS1_3gpuE2ELNS1_3repE0EEENS1_30default_config_static_selectorELNS0_4arch9wavefront6targetE0EEEvSR_: ; @_ZN7rocprim17ROCPRIM_400000_NS6detail17trampoline_kernelINS0_14default_configENS1_22reduce_config_selectorI18summary_stats_dataIfEEEZNS1_11reduce_implILb1ES3_N6thrust23THRUST_200600_302600_NS11hip_rocprim26transform_input_iterator_tIS6_NSA_6detail15normal_iteratorINSA_10device_ptrIfEEEE22summary_stats_unary_opIfEEEPS6_S6_23summary_stats_binary_opIfEEE10hipError_tPvRmT1_T2_T3_mT4_P12ihipStream_tbEUlT_E1_NS1_11comp_targetILNS1_3genE8ELNS1_11target_archE1030ELNS1_3gpuE2ELNS1_3repE0EEENS1_30default_config_static_selectorELNS0_4arch9wavefront6targetE0EEEvSR_
; %bb.0:
	.section	.rodata,"a",@progbits
	.p2align	6, 0x0
	.amdhsa_kernel _ZN7rocprim17ROCPRIM_400000_NS6detail17trampoline_kernelINS0_14default_configENS1_22reduce_config_selectorI18summary_stats_dataIfEEEZNS1_11reduce_implILb1ES3_N6thrust23THRUST_200600_302600_NS11hip_rocprim26transform_input_iterator_tIS6_NSA_6detail15normal_iteratorINSA_10device_ptrIfEEEE22summary_stats_unary_opIfEEEPS6_S6_23summary_stats_binary_opIfEEE10hipError_tPvRmT1_T2_T3_mT4_P12ihipStream_tbEUlT_E1_NS1_11comp_targetILNS1_3genE8ELNS1_11target_archE1030ELNS1_3gpuE2ELNS1_3repE0EEENS1_30default_config_static_selectorELNS0_4arch9wavefront6targetE0EEEvSR_
		.amdhsa_group_segment_fixed_size 0
		.amdhsa_private_segment_fixed_size 0
		.amdhsa_kernarg_size 72
		.amdhsa_user_sgpr_count 15
		.amdhsa_user_sgpr_dispatch_ptr 0
		.amdhsa_user_sgpr_queue_ptr 0
		.amdhsa_user_sgpr_kernarg_segment_ptr 1
		.amdhsa_user_sgpr_dispatch_id 0
		.amdhsa_user_sgpr_private_segment_size 0
		.amdhsa_wavefront_size32 1
		.amdhsa_uses_dynamic_stack 0
		.amdhsa_enable_private_segment 0
		.amdhsa_system_sgpr_workgroup_id_x 1
		.amdhsa_system_sgpr_workgroup_id_y 0
		.amdhsa_system_sgpr_workgroup_id_z 0
		.amdhsa_system_sgpr_workgroup_info 0
		.amdhsa_system_vgpr_workitem_id 0
		.amdhsa_next_free_vgpr 1
		.amdhsa_next_free_sgpr 1
		.amdhsa_reserve_vcc 0
		.amdhsa_float_round_mode_32 0
		.amdhsa_float_round_mode_16_64 0
		.amdhsa_float_denorm_mode_32 3
		.amdhsa_float_denorm_mode_16_64 3
		.amdhsa_dx10_clamp 1
		.amdhsa_ieee_mode 1
		.amdhsa_fp16_overflow 0
		.amdhsa_workgroup_processor_mode 1
		.amdhsa_memory_ordered 1
		.amdhsa_forward_progress 0
		.amdhsa_shared_vgpr_count 0
		.amdhsa_exception_fp_ieee_invalid_op 0
		.amdhsa_exception_fp_denorm_src 0
		.amdhsa_exception_fp_ieee_div_zero 0
		.amdhsa_exception_fp_ieee_overflow 0
		.amdhsa_exception_fp_ieee_underflow 0
		.amdhsa_exception_fp_ieee_inexact 0
		.amdhsa_exception_int_div_zero 0
	.end_amdhsa_kernel
	.section	.text._ZN7rocprim17ROCPRIM_400000_NS6detail17trampoline_kernelINS0_14default_configENS1_22reduce_config_selectorI18summary_stats_dataIfEEEZNS1_11reduce_implILb1ES3_N6thrust23THRUST_200600_302600_NS11hip_rocprim26transform_input_iterator_tIS6_NSA_6detail15normal_iteratorINSA_10device_ptrIfEEEE22summary_stats_unary_opIfEEEPS6_S6_23summary_stats_binary_opIfEEE10hipError_tPvRmT1_T2_T3_mT4_P12ihipStream_tbEUlT_E1_NS1_11comp_targetILNS1_3genE8ELNS1_11target_archE1030ELNS1_3gpuE2ELNS1_3repE0EEENS1_30default_config_static_selectorELNS0_4arch9wavefront6targetE0EEEvSR_,"axG",@progbits,_ZN7rocprim17ROCPRIM_400000_NS6detail17trampoline_kernelINS0_14default_configENS1_22reduce_config_selectorI18summary_stats_dataIfEEEZNS1_11reduce_implILb1ES3_N6thrust23THRUST_200600_302600_NS11hip_rocprim26transform_input_iterator_tIS6_NSA_6detail15normal_iteratorINSA_10device_ptrIfEEEE22summary_stats_unary_opIfEEEPS6_S6_23summary_stats_binary_opIfEEE10hipError_tPvRmT1_T2_T3_mT4_P12ihipStream_tbEUlT_E1_NS1_11comp_targetILNS1_3genE8ELNS1_11target_archE1030ELNS1_3gpuE2ELNS1_3repE0EEENS1_30default_config_static_selectorELNS0_4arch9wavefront6targetE0EEEvSR_,comdat
.Lfunc_end35:
	.size	_ZN7rocprim17ROCPRIM_400000_NS6detail17trampoline_kernelINS0_14default_configENS1_22reduce_config_selectorI18summary_stats_dataIfEEEZNS1_11reduce_implILb1ES3_N6thrust23THRUST_200600_302600_NS11hip_rocprim26transform_input_iterator_tIS6_NSA_6detail15normal_iteratorINSA_10device_ptrIfEEEE22summary_stats_unary_opIfEEEPS6_S6_23summary_stats_binary_opIfEEE10hipError_tPvRmT1_T2_T3_mT4_P12ihipStream_tbEUlT_E1_NS1_11comp_targetILNS1_3genE8ELNS1_11target_archE1030ELNS1_3gpuE2ELNS1_3repE0EEENS1_30default_config_static_selectorELNS0_4arch9wavefront6targetE0EEEvSR_, .Lfunc_end35-_ZN7rocprim17ROCPRIM_400000_NS6detail17trampoline_kernelINS0_14default_configENS1_22reduce_config_selectorI18summary_stats_dataIfEEEZNS1_11reduce_implILb1ES3_N6thrust23THRUST_200600_302600_NS11hip_rocprim26transform_input_iterator_tIS6_NSA_6detail15normal_iteratorINSA_10device_ptrIfEEEE22summary_stats_unary_opIfEEEPS6_S6_23summary_stats_binary_opIfEEE10hipError_tPvRmT1_T2_T3_mT4_P12ihipStream_tbEUlT_E1_NS1_11comp_targetILNS1_3genE8ELNS1_11target_archE1030ELNS1_3gpuE2ELNS1_3repE0EEENS1_30default_config_static_selectorELNS0_4arch9wavefront6targetE0EEEvSR_
                                        ; -- End function
	.section	.AMDGPU.csdata,"",@progbits
; Kernel info:
; codeLenInByte = 0
; NumSgprs: 0
; NumVgprs: 0
; ScratchSize: 0
; MemoryBound: 0
; FloatMode: 240
; IeeeMode: 1
; LDSByteSize: 0 bytes/workgroup (compile time only)
; SGPRBlocks: 0
; VGPRBlocks: 0
; NumSGPRsForWavesPerEU: 1
; NumVGPRsForWavesPerEU: 1
; Occupancy: 16
; WaveLimiterHint : 0
; COMPUTE_PGM_RSRC2:SCRATCH_EN: 0
; COMPUTE_PGM_RSRC2:USER_SGPR: 15
; COMPUTE_PGM_RSRC2:TRAP_HANDLER: 0
; COMPUTE_PGM_RSRC2:TGID_X_EN: 1
; COMPUTE_PGM_RSRC2:TGID_Y_EN: 0
; COMPUTE_PGM_RSRC2:TGID_Z_EN: 0
; COMPUTE_PGM_RSRC2:TIDIG_COMP_CNT: 0
	.section	.text._ZN6thrust23THRUST_200600_302600_NS11hip_rocprim14__parallel_for6kernelILj256ENS1_20__uninitialized_copy7functorINS0_6detail15normal_iteratorINS0_10device_ptrIfEEEENS0_7pointerIfNS1_3tagENS0_11use_defaultESD_EEEEmLj1EEEvT0_T1_SH_,"axG",@progbits,_ZN6thrust23THRUST_200600_302600_NS11hip_rocprim14__parallel_for6kernelILj256ENS1_20__uninitialized_copy7functorINS0_6detail15normal_iteratorINS0_10device_ptrIfEEEENS0_7pointerIfNS1_3tagENS0_11use_defaultESD_EEEEmLj1EEEvT0_T1_SH_,comdat
	.protected	_ZN6thrust23THRUST_200600_302600_NS11hip_rocprim14__parallel_for6kernelILj256ENS1_20__uninitialized_copy7functorINS0_6detail15normal_iteratorINS0_10device_ptrIfEEEENS0_7pointerIfNS1_3tagENS0_11use_defaultESD_EEEEmLj1EEEvT0_T1_SH_ ; -- Begin function _ZN6thrust23THRUST_200600_302600_NS11hip_rocprim14__parallel_for6kernelILj256ENS1_20__uninitialized_copy7functorINS0_6detail15normal_iteratorINS0_10device_ptrIfEEEENS0_7pointerIfNS1_3tagENS0_11use_defaultESD_EEEEmLj1EEEvT0_T1_SH_
	.globl	_ZN6thrust23THRUST_200600_302600_NS11hip_rocprim14__parallel_for6kernelILj256ENS1_20__uninitialized_copy7functorINS0_6detail15normal_iteratorINS0_10device_ptrIfEEEENS0_7pointerIfNS1_3tagENS0_11use_defaultESD_EEEEmLj1EEEvT0_T1_SH_
	.p2align	8
	.type	_ZN6thrust23THRUST_200600_302600_NS11hip_rocprim14__parallel_for6kernelILj256ENS1_20__uninitialized_copy7functorINS0_6detail15normal_iteratorINS0_10device_ptrIfEEEENS0_7pointerIfNS1_3tagENS0_11use_defaultESD_EEEEmLj1EEEvT0_T1_SH_,@function
_ZN6thrust23THRUST_200600_302600_NS11hip_rocprim14__parallel_for6kernelILj256ENS1_20__uninitialized_copy7functorINS0_6detail15normal_iteratorINS0_10device_ptrIfEEEENS0_7pointerIfNS1_3tagENS0_11use_defaultESD_EEEEmLj1EEEvT0_T1_SH_: ; @_ZN6thrust23THRUST_200600_302600_NS11hip_rocprim14__parallel_for6kernelILj256ENS1_20__uninitialized_copy7functorINS0_6detail15normal_iteratorINS0_10device_ptrIfEEEENS0_7pointerIfNS1_3tagENS0_11use_defaultESD_EEEEmLj1EEEvT0_T1_SH_
; %bb.0:
	s_load_b256 s[0:7], s[0:1], 0x0
	s_lshl_b32 s8, s15, 8
	s_waitcnt lgkmcnt(0)
	s_add_u32 s6, s8, s6
	s_addc_u32 s7, 0, s7
	s_sub_u32 s4, s4, s6
	s_subb_u32 s5, s5, s7
	s_delay_alu instid0(SALU_CYCLE_1) | instskip(NEXT) | instid1(VALU_DEP_1)
	v_cmp_gt_u64_e64 s5, 0x100, s[4:5]
	s_and_b32 vcc_lo, exec_lo, s5
	s_mov_b32 s5, 0
	s_cbranch_vccz .LBB36_4
; %bb.1:
	v_cmp_gt_u32_e32 vcc_lo, s4, v0
	s_mov_b32 s4, 0
                                        ; implicit-def: $vgpr1_vgpr2
                                        ; implicit-def: $vgpr3_vgpr4
	s_and_saveexec_b32 s8, vcc_lo
	s_delay_alu instid0(SALU_CYCLE_1)
	s_xor_b32 s8, exec_lo, s8
; %bb.2:
	v_add_co_u32 v1, s9, s6, v0
	s_delay_alu instid0(VALU_DEP_1) | instskip(SKIP_1) | instid1(VALU_DEP_1)
	v_add_co_ci_u32_e64 v2, null, s7, 0, s9
	s_mov_b32 s5, exec_lo
	v_lshlrev_b64 v[3:4], 2, v[1:2]
	s_delay_alu instid0(VALU_DEP_1) | instskip(NEXT) | instid1(VALU_DEP_2)
	v_add_co_u32 v1, vcc_lo, s2, v3
	v_add_co_ci_u32_e32 v2, vcc_lo, s3, v4, vcc_lo
	v_add_co_u32 v3, vcc_lo, s0, v3
	v_add_co_ci_u32_e32 v4, vcc_lo, s1, v4, vcc_lo
; %bb.3:
	s_or_b32 exec_lo, exec_lo, s8
	s_delay_alu instid0(SALU_CYCLE_1)
	s_and_b32 vcc_lo, exec_lo, s4
	s_cbranch_vccnz .LBB36_5
	s_branch .LBB36_6
.LBB36_4:
                                        ; implicit-def: $vgpr1_vgpr2
                                        ; implicit-def: $vgpr3_vgpr4
	s_cbranch_execz .LBB36_6
.LBB36_5:
	v_add_co_u32 v0, s4, s6, v0
	s_delay_alu instid0(VALU_DEP_1) | instskip(SKIP_1) | instid1(VALU_DEP_1)
	v_add_co_ci_u32_e64 v1, null, s7, 0, s4
	s_or_b32 s5, s5, exec_lo
	v_lshlrev_b64 v[1:2], 2, v[0:1]
	s_delay_alu instid0(VALU_DEP_1) | instskip(NEXT) | instid1(VALU_DEP_2)
	v_add_co_u32 v3, vcc_lo, s0, v1
	v_add_co_ci_u32_e32 v4, vcc_lo, s1, v2, vcc_lo
	v_add_co_u32 v1, vcc_lo, s2, v1
	v_add_co_ci_u32_e32 v2, vcc_lo, s3, v2, vcc_lo
.LBB36_6:
	s_and_saveexec_b32 s0, s5
	s_cbranch_execnz .LBB36_8
; %bb.7:
	s_endpgm
.LBB36_8:
	flat_load_b32 v0, v[3:4]
	s_waitcnt vmcnt(0) lgkmcnt(0)
	flat_store_b32 v[1:2], v0
	s_endpgm
	.section	.rodata,"a",@progbits
	.p2align	6, 0x0
	.amdhsa_kernel _ZN6thrust23THRUST_200600_302600_NS11hip_rocprim14__parallel_for6kernelILj256ENS1_20__uninitialized_copy7functorINS0_6detail15normal_iteratorINS0_10device_ptrIfEEEENS0_7pointerIfNS1_3tagENS0_11use_defaultESD_EEEEmLj1EEEvT0_T1_SH_
		.amdhsa_group_segment_fixed_size 0
		.amdhsa_private_segment_fixed_size 0
		.amdhsa_kernarg_size 32
		.amdhsa_user_sgpr_count 15
		.amdhsa_user_sgpr_dispatch_ptr 0
		.amdhsa_user_sgpr_queue_ptr 0
		.amdhsa_user_sgpr_kernarg_segment_ptr 1
		.amdhsa_user_sgpr_dispatch_id 0
		.amdhsa_user_sgpr_private_segment_size 0
		.amdhsa_wavefront_size32 1
		.amdhsa_uses_dynamic_stack 0
		.amdhsa_enable_private_segment 0
		.amdhsa_system_sgpr_workgroup_id_x 1
		.amdhsa_system_sgpr_workgroup_id_y 0
		.amdhsa_system_sgpr_workgroup_id_z 0
		.amdhsa_system_sgpr_workgroup_info 0
		.amdhsa_system_vgpr_workitem_id 0
		.amdhsa_next_free_vgpr 5
		.amdhsa_next_free_sgpr 16
		.amdhsa_reserve_vcc 1
		.amdhsa_float_round_mode_32 0
		.amdhsa_float_round_mode_16_64 0
		.amdhsa_float_denorm_mode_32 3
		.amdhsa_float_denorm_mode_16_64 3
		.amdhsa_dx10_clamp 1
		.amdhsa_ieee_mode 1
		.amdhsa_fp16_overflow 0
		.amdhsa_workgroup_processor_mode 1
		.amdhsa_memory_ordered 1
		.amdhsa_forward_progress 0
		.amdhsa_shared_vgpr_count 0
		.amdhsa_exception_fp_ieee_invalid_op 0
		.amdhsa_exception_fp_denorm_src 0
		.amdhsa_exception_fp_ieee_div_zero 0
		.amdhsa_exception_fp_ieee_overflow 0
		.amdhsa_exception_fp_ieee_underflow 0
		.amdhsa_exception_fp_ieee_inexact 0
		.amdhsa_exception_int_div_zero 0
	.end_amdhsa_kernel
	.section	.text._ZN6thrust23THRUST_200600_302600_NS11hip_rocprim14__parallel_for6kernelILj256ENS1_20__uninitialized_copy7functorINS0_6detail15normal_iteratorINS0_10device_ptrIfEEEENS0_7pointerIfNS1_3tagENS0_11use_defaultESD_EEEEmLj1EEEvT0_T1_SH_,"axG",@progbits,_ZN6thrust23THRUST_200600_302600_NS11hip_rocprim14__parallel_for6kernelILj256ENS1_20__uninitialized_copy7functorINS0_6detail15normal_iteratorINS0_10device_ptrIfEEEENS0_7pointerIfNS1_3tagENS0_11use_defaultESD_EEEEmLj1EEEvT0_T1_SH_,comdat
.Lfunc_end36:
	.size	_ZN6thrust23THRUST_200600_302600_NS11hip_rocprim14__parallel_for6kernelILj256ENS1_20__uninitialized_copy7functorINS0_6detail15normal_iteratorINS0_10device_ptrIfEEEENS0_7pointerIfNS1_3tagENS0_11use_defaultESD_EEEEmLj1EEEvT0_T1_SH_, .Lfunc_end36-_ZN6thrust23THRUST_200600_302600_NS11hip_rocprim14__parallel_for6kernelILj256ENS1_20__uninitialized_copy7functorINS0_6detail15normal_iteratorINS0_10device_ptrIfEEEENS0_7pointerIfNS1_3tagENS0_11use_defaultESD_EEEEmLj1EEEvT0_T1_SH_
                                        ; -- End function
	.section	.AMDGPU.csdata,"",@progbits
; Kernel info:
; codeLenInByte = 260
; NumSgprs: 18
; NumVgprs: 5
; ScratchSize: 0
; MemoryBound: 0
; FloatMode: 240
; IeeeMode: 1
; LDSByteSize: 0 bytes/workgroup (compile time only)
; SGPRBlocks: 2
; VGPRBlocks: 0
; NumSGPRsForWavesPerEU: 18
; NumVGPRsForWavesPerEU: 5
; Occupancy: 16
; WaveLimiterHint : 0
; COMPUTE_PGM_RSRC2:SCRATCH_EN: 0
; COMPUTE_PGM_RSRC2:USER_SGPR: 15
; COMPUTE_PGM_RSRC2:TRAP_HANDLER: 0
; COMPUTE_PGM_RSRC2:TGID_X_EN: 1
; COMPUTE_PGM_RSRC2:TGID_Y_EN: 0
; COMPUTE_PGM_RSRC2:TGID_Z_EN: 0
; COMPUTE_PGM_RSRC2:TIDIG_COMP_CNT: 0
	.text
	.p2alignl 7, 3214868480
	.fill 96, 4, 3214868480
	.type	__hip_cuid_18287f294789ad9c,@object ; @__hip_cuid_18287f294789ad9c
	.section	.bss,"aw",@nobits
	.globl	__hip_cuid_18287f294789ad9c
__hip_cuid_18287f294789ad9c:
	.byte	0                               ; 0x0
	.size	__hip_cuid_18287f294789ad9c, 1

	.ident	"AMD clang version 19.0.0git (https://github.com/RadeonOpenCompute/llvm-project roc-6.4.0 25133 c7fe45cf4b819c5991fe208aaa96edf142730f1d)"
	.section	".note.GNU-stack","",@progbits
	.addrsig
	.addrsig_sym __hip_cuid_18287f294789ad9c
	.amdgpu_metadata
---
amdhsa.kernels:
  - .args:
      - .offset:         0
        .size:           80
        .value_kind:     by_value
    .group_segment_fixed_size: 0
    .kernarg_segment_align: 8
    .kernarg_segment_size: 80
    .language:       OpenCL C
    .language_version:
      - 2
      - 0
    .max_flat_workgroup_size: 256
    .name:           _ZN7rocprim17ROCPRIM_400000_NS6detail17trampoline_kernelINS0_14default_configENS1_22reduce_config_selectorI18summary_stats_dataIfEEEZNS1_11reduce_implILb1ES3_PS6_S9_S6_23summary_stats_binary_opIfEEE10hipError_tPvRmT1_T2_T3_mT4_P12ihipStream_tbEUlT_E0_NS1_11comp_targetILNS1_3genE0ELNS1_11target_archE4294967295ELNS1_3gpuE0ELNS1_3repE0EEENS1_30default_config_static_selectorELNS0_4arch9wavefront6targetE0EEEvSF_
    .private_segment_fixed_size: 0
    .sgpr_count:     0
    .sgpr_spill_count: 0
    .symbol:         _ZN7rocprim17ROCPRIM_400000_NS6detail17trampoline_kernelINS0_14default_configENS1_22reduce_config_selectorI18summary_stats_dataIfEEEZNS1_11reduce_implILb1ES3_PS6_S9_S6_23summary_stats_binary_opIfEEE10hipError_tPvRmT1_T2_T3_mT4_P12ihipStream_tbEUlT_E0_NS1_11comp_targetILNS1_3genE0ELNS1_11target_archE4294967295ELNS1_3gpuE0ELNS1_3repE0EEENS1_30default_config_static_selectorELNS0_4arch9wavefront6targetE0EEEvSF_.kd
    .uniform_work_group_size: 1
    .uses_dynamic_stack: false
    .vgpr_count:     0
    .vgpr_spill_count: 0
    .wavefront_size: 32
    .workgroup_processor_mode: 1
  - .args:
      - .offset:         0
        .size:           80
        .value_kind:     by_value
    .group_segment_fixed_size: 0
    .kernarg_segment_align: 8
    .kernarg_segment_size: 80
    .language:       OpenCL C
    .language_version:
      - 2
      - 0
    .max_flat_workgroup_size: 256
    .name:           _ZN7rocprim17ROCPRIM_400000_NS6detail17trampoline_kernelINS0_14default_configENS1_22reduce_config_selectorI18summary_stats_dataIfEEEZNS1_11reduce_implILb1ES3_PS6_S9_S6_23summary_stats_binary_opIfEEE10hipError_tPvRmT1_T2_T3_mT4_P12ihipStream_tbEUlT_E0_NS1_11comp_targetILNS1_3genE5ELNS1_11target_archE942ELNS1_3gpuE9ELNS1_3repE0EEENS1_30default_config_static_selectorELNS0_4arch9wavefront6targetE0EEEvSF_
    .private_segment_fixed_size: 0
    .sgpr_count:     0
    .sgpr_spill_count: 0
    .symbol:         _ZN7rocprim17ROCPRIM_400000_NS6detail17trampoline_kernelINS0_14default_configENS1_22reduce_config_selectorI18summary_stats_dataIfEEEZNS1_11reduce_implILb1ES3_PS6_S9_S6_23summary_stats_binary_opIfEEE10hipError_tPvRmT1_T2_T3_mT4_P12ihipStream_tbEUlT_E0_NS1_11comp_targetILNS1_3genE5ELNS1_11target_archE942ELNS1_3gpuE9ELNS1_3repE0EEENS1_30default_config_static_selectorELNS0_4arch9wavefront6targetE0EEEvSF_.kd
    .uniform_work_group_size: 1
    .uses_dynamic_stack: false
    .vgpr_count:     0
    .vgpr_spill_count: 0
    .wavefront_size: 32
    .workgroup_processor_mode: 1
  - .args:
      - .offset:         0
        .size:           80
        .value_kind:     by_value
    .group_segment_fixed_size: 0
    .kernarg_segment_align: 8
    .kernarg_segment_size: 80
    .language:       OpenCL C
    .language_version:
      - 2
      - 0
    .max_flat_workgroup_size: 256
    .name:           _ZN7rocprim17ROCPRIM_400000_NS6detail17trampoline_kernelINS0_14default_configENS1_22reduce_config_selectorI18summary_stats_dataIfEEEZNS1_11reduce_implILb1ES3_PS6_S9_S6_23summary_stats_binary_opIfEEE10hipError_tPvRmT1_T2_T3_mT4_P12ihipStream_tbEUlT_E0_NS1_11comp_targetILNS1_3genE4ELNS1_11target_archE910ELNS1_3gpuE8ELNS1_3repE0EEENS1_30default_config_static_selectorELNS0_4arch9wavefront6targetE0EEEvSF_
    .private_segment_fixed_size: 0
    .sgpr_count:     0
    .sgpr_spill_count: 0
    .symbol:         _ZN7rocprim17ROCPRIM_400000_NS6detail17trampoline_kernelINS0_14default_configENS1_22reduce_config_selectorI18summary_stats_dataIfEEEZNS1_11reduce_implILb1ES3_PS6_S9_S6_23summary_stats_binary_opIfEEE10hipError_tPvRmT1_T2_T3_mT4_P12ihipStream_tbEUlT_E0_NS1_11comp_targetILNS1_3genE4ELNS1_11target_archE910ELNS1_3gpuE8ELNS1_3repE0EEENS1_30default_config_static_selectorELNS0_4arch9wavefront6targetE0EEEvSF_.kd
    .uniform_work_group_size: 1
    .uses_dynamic_stack: false
    .vgpr_count:     0
    .vgpr_spill_count: 0
    .wavefront_size: 32
    .workgroup_processor_mode: 1
  - .args:
      - .offset:         0
        .size:           80
        .value_kind:     by_value
    .group_segment_fixed_size: 0
    .kernarg_segment_align: 8
    .kernarg_segment_size: 80
    .language:       OpenCL C
    .language_version:
      - 2
      - 0
    .max_flat_workgroup_size: 256
    .name:           _ZN7rocprim17ROCPRIM_400000_NS6detail17trampoline_kernelINS0_14default_configENS1_22reduce_config_selectorI18summary_stats_dataIfEEEZNS1_11reduce_implILb1ES3_PS6_S9_S6_23summary_stats_binary_opIfEEE10hipError_tPvRmT1_T2_T3_mT4_P12ihipStream_tbEUlT_E0_NS1_11comp_targetILNS1_3genE3ELNS1_11target_archE908ELNS1_3gpuE7ELNS1_3repE0EEENS1_30default_config_static_selectorELNS0_4arch9wavefront6targetE0EEEvSF_
    .private_segment_fixed_size: 0
    .sgpr_count:     0
    .sgpr_spill_count: 0
    .symbol:         _ZN7rocprim17ROCPRIM_400000_NS6detail17trampoline_kernelINS0_14default_configENS1_22reduce_config_selectorI18summary_stats_dataIfEEEZNS1_11reduce_implILb1ES3_PS6_S9_S6_23summary_stats_binary_opIfEEE10hipError_tPvRmT1_T2_T3_mT4_P12ihipStream_tbEUlT_E0_NS1_11comp_targetILNS1_3genE3ELNS1_11target_archE908ELNS1_3gpuE7ELNS1_3repE0EEENS1_30default_config_static_selectorELNS0_4arch9wavefront6targetE0EEEvSF_.kd
    .uniform_work_group_size: 1
    .uses_dynamic_stack: false
    .vgpr_count:     0
    .vgpr_spill_count: 0
    .wavefront_size: 32
    .workgroup_processor_mode: 1
  - .args:
      - .offset:         0
        .size:           80
        .value_kind:     by_value
    .group_segment_fixed_size: 0
    .kernarg_segment_align: 8
    .kernarg_segment_size: 80
    .language:       OpenCL C
    .language_version:
      - 2
      - 0
    .max_flat_workgroup_size: 256
    .name:           _ZN7rocprim17ROCPRIM_400000_NS6detail17trampoline_kernelINS0_14default_configENS1_22reduce_config_selectorI18summary_stats_dataIfEEEZNS1_11reduce_implILb1ES3_PS6_S9_S6_23summary_stats_binary_opIfEEE10hipError_tPvRmT1_T2_T3_mT4_P12ihipStream_tbEUlT_E0_NS1_11comp_targetILNS1_3genE2ELNS1_11target_archE906ELNS1_3gpuE6ELNS1_3repE0EEENS1_30default_config_static_selectorELNS0_4arch9wavefront6targetE0EEEvSF_
    .private_segment_fixed_size: 0
    .sgpr_count:     0
    .sgpr_spill_count: 0
    .symbol:         _ZN7rocprim17ROCPRIM_400000_NS6detail17trampoline_kernelINS0_14default_configENS1_22reduce_config_selectorI18summary_stats_dataIfEEEZNS1_11reduce_implILb1ES3_PS6_S9_S6_23summary_stats_binary_opIfEEE10hipError_tPvRmT1_T2_T3_mT4_P12ihipStream_tbEUlT_E0_NS1_11comp_targetILNS1_3genE2ELNS1_11target_archE906ELNS1_3gpuE6ELNS1_3repE0EEENS1_30default_config_static_selectorELNS0_4arch9wavefront6targetE0EEEvSF_.kd
    .uniform_work_group_size: 1
    .uses_dynamic_stack: false
    .vgpr_count:     0
    .vgpr_spill_count: 0
    .wavefront_size: 32
    .workgroup_processor_mode: 1
  - .args:
      - .offset:         0
        .size:           80
        .value_kind:     by_value
    .group_segment_fixed_size: 0
    .kernarg_segment_align: 8
    .kernarg_segment_size: 80
    .language:       OpenCL C
    .language_version:
      - 2
      - 0
    .max_flat_workgroup_size: 256
    .name:           _ZN7rocprim17ROCPRIM_400000_NS6detail17trampoline_kernelINS0_14default_configENS1_22reduce_config_selectorI18summary_stats_dataIfEEEZNS1_11reduce_implILb1ES3_PS6_S9_S6_23summary_stats_binary_opIfEEE10hipError_tPvRmT1_T2_T3_mT4_P12ihipStream_tbEUlT_E0_NS1_11comp_targetILNS1_3genE10ELNS1_11target_archE1201ELNS1_3gpuE5ELNS1_3repE0EEENS1_30default_config_static_selectorELNS0_4arch9wavefront6targetE0EEEvSF_
    .private_segment_fixed_size: 0
    .sgpr_count:     0
    .sgpr_spill_count: 0
    .symbol:         _ZN7rocprim17ROCPRIM_400000_NS6detail17trampoline_kernelINS0_14default_configENS1_22reduce_config_selectorI18summary_stats_dataIfEEEZNS1_11reduce_implILb1ES3_PS6_S9_S6_23summary_stats_binary_opIfEEE10hipError_tPvRmT1_T2_T3_mT4_P12ihipStream_tbEUlT_E0_NS1_11comp_targetILNS1_3genE10ELNS1_11target_archE1201ELNS1_3gpuE5ELNS1_3repE0EEENS1_30default_config_static_selectorELNS0_4arch9wavefront6targetE0EEEvSF_.kd
    .uniform_work_group_size: 1
    .uses_dynamic_stack: false
    .vgpr_count:     0
    .vgpr_spill_count: 0
    .wavefront_size: 32
    .workgroup_processor_mode: 1
  - .args:
      - .offset:         0
        .size:           80
        .value_kind:     by_value
    .group_segment_fixed_size: 0
    .kernarg_segment_align: 8
    .kernarg_segment_size: 80
    .language:       OpenCL C
    .language_version:
      - 2
      - 0
    .max_flat_workgroup_size: 256
    .name:           _ZN7rocprim17ROCPRIM_400000_NS6detail17trampoline_kernelINS0_14default_configENS1_22reduce_config_selectorI18summary_stats_dataIfEEEZNS1_11reduce_implILb1ES3_PS6_S9_S6_23summary_stats_binary_opIfEEE10hipError_tPvRmT1_T2_T3_mT4_P12ihipStream_tbEUlT_E0_NS1_11comp_targetILNS1_3genE10ELNS1_11target_archE1200ELNS1_3gpuE4ELNS1_3repE0EEENS1_30default_config_static_selectorELNS0_4arch9wavefront6targetE0EEEvSF_
    .private_segment_fixed_size: 0
    .sgpr_count:     0
    .sgpr_spill_count: 0
    .symbol:         _ZN7rocprim17ROCPRIM_400000_NS6detail17trampoline_kernelINS0_14default_configENS1_22reduce_config_selectorI18summary_stats_dataIfEEEZNS1_11reduce_implILb1ES3_PS6_S9_S6_23summary_stats_binary_opIfEEE10hipError_tPvRmT1_T2_T3_mT4_P12ihipStream_tbEUlT_E0_NS1_11comp_targetILNS1_3genE10ELNS1_11target_archE1200ELNS1_3gpuE4ELNS1_3repE0EEENS1_30default_config_static_selectorELNS0_4arch9wavefront6targetE0EEEvSF_.kd
    .uniform_work_group_size: 1
    .uses_dynamic_stack: false
    .vgpr_count:     0
    .vgpr_spill_count: 0
    .wavefront_size: 32
    .workgroup_processor_mode: 1
  - .args:
      - .offset:         0
        .size:           80
        .value_kind:     by_value
    .group_segment_fixed_size: 448
    .kernarg_segment_align: 8
    .kernarg_segment_size: 80
    .language:       OpenCL C
    .language_version:
      - 2
      - 0
    .max_flat_workgroup_size: 256
    .name:           _ZN7rocprim17ROCPRIM_400000_NS6detail17trampoline_kernelINS0_14default_configENS1_22reduce_config_selectorI18summary_stats_dataIfEEEZNS1_11reduce_implILb1ES3_PS6_S9_S6_23summary_stats_binary_opIfEEE10hipError_tPvRmT1_T2_T3_mT4_P12ihipStream_tbEUlT_E0_NS1_11comp_targetILNS1_3genE9ELNS1_11target_archE1100ELNS1_3gpuE3ELNS1_3repE0EEENS1_30default_config_static_selectorELNS0_4arch9wavefront6targetE0EEEvSF_
    .private_segment_fixed_size: 0
    .sgpr_count:     30
    .sgpr_spill_count: 0
    .symbol:         _ZN7rocprim17ROCPRIM_400000_NS6detail17trampoline_kernelINS0_14default_configENS1_22reduce_config_selectorI18summary_stats_dataIfEEEZNS1_11reduce_implILb1ES3_PS6_S9_S6_23summary_stats_binary_opIfEEE10hipError_tPvRmT1_T2_T3_mT4_P12ihipStream_tbEUlT_E0_NS1_11comp_targetILNS1_3genE9ELNS1_11target_archE1100ELNS1_3gpuE3ELNS1_3repE0EEENS1_30default_config_static_selectorELNS0_4arch9wavefront6targetE0EEEvSF_.kd
    .uniform_work_group_size: 1
    .uses_dynamic_stack: false
    .vgpr_count:     76
    .vgpr_spill_count: 0
    .wavefront_size: 32
    .workgroup_processor_mode: 1
  - .args:
      - .offset:         0
        .size:           80
        .value_kind:     by_value
    .group_segment_fixed_size: 0
    .kernarg_segment_align: 8
    .kernarg_segment_size: 80
    .language:       OpenCL C
    .language_version:
      - 2
      - 0
    .max_flat_workgroup_size: 256
    .name:           _ZN7rocprim17ROCPRIM_400000_NS6detail17trampoline_kernelINS0_14default_configENS1_22reduce_config_selectorI18summary_stats_dataIfEEEZNS1_11reduce_implILb1ES3_PS6_S9_S6_23summary_stats_binary_opIfEEE10hipError_tPvRmT1_T2_T3_mT4_P12ihipStream_tbEUlT_E0_NS1_11comp_targetILNS1_3genE8ELNS1_11target_archE1030ELNS1_3gpuE2ELNS1_3repE0EEENS1_30default_config_static_selectorELNS0_4arch9wavefront6targetE0EEEvSF_
    .private_segment_fixed_size: 0
    .sgpr_count:     0
    .sgpr_spill_count: 0
    .symbol:         _ZN7rocprim17ROCPRIM_400000_NS6detail17trampoline_kernelINS0_14default_configENS1_22reduce_config_selectorI18summary_stats_dataIfEEEZNS1_11reduce_implILb1ES3_PS6_S9_S6_23summary_stats_binary_opIfEEE10hipError_tPvRmT1_T2_T3_mT4_P12ihipStream_tbEUlT_E0_NS1_11comp_targetILNS1_3genE8ELNS1_11target_archE1030ELNS1_3gpuE2ELNS1_3repE0EEENS1_30default_config_static_selectorELNS0_4arch9wavefront6targetE0EEEvSF_.kd
    .uniform_work_group_size: 1
    .uses_dynamic_stack: false
    .vgpr_count:     0
    .vgpr_spill_count: 0
    .wavefront_size: 32
    .workgroup_processor_mode: 1
  - .args:
      - .offset:         0
        .size:           64
        .value_kind:     by_value
    .group_segment_fixed_size: 0
    .kernarg_segment_align: 8
    .kernarg_segment_size: 64
    .language:       OpenCL C
    .language_version:
      - 2
      - 0
    .max_flat_workgroup_size: 256
    .name:           _ZN7rocprim17ROCPRIM_400000_NS6detail17trampoline_kernelINS0_14default_configENS1_22reduce_config_selectorI18summary_stats_dataIfEEEZNS1_11reduce_implILb1ES3_PS6_S9_S6_23summary_stats_binary_opIfEEE10hipError_tPvRmT1_T2_T3_mT4_P12ihipStream_tbEUlT_E1_NS1_11comp_targetILNS1_3genE0ELNS1_11target_archE4294967295ELNS1_3gpuE0ELNS1_3repE0EEENS1_30default_config_static_selectorELNS0_4arch9wavefront6targetE0EEEvSF_
    .private_segment_fixed_size: 0
    .sgpr_count:     0
    .sgpr_spill_count: 0
    .symbol:         _ZN7rocprim17ROCPRIM_400000_NS6detail17trampoline_kernelINS0_14default_configENS1_22reduce_config_selectorI18summary_stats_dataIfEEEZNS1_11reduce_implILb1ES3_PS6_S9_S6_23summary_stats_binary_opIfEEE10hipError_tPvRmT1_T2_T3_mT4_P12ihipStream_tbEUlT_E1_NS1_11comp_targetILNS1_3genE0ELNS1_11target_archE4294967295ELNS1_3gpuE0ELNS1_3repE0EEENS1_30default_config_static_selectorELNS0_4arch9wavefront6targetE0EEEvSF_.kd
    .uniform_work_group_size: 1
    .uses_dynamic_stack: false
    .vgpr_count:     0
    .vgpr_spill_count: 0
    .wavefront_size: 32
    .workgroup_processor_mode: 1
  - .args:
      - .offset:         0
        .size:           64
        .value_kind:     by_value
    .group_segment_fixed_size: 0
    .kernarg_segment_align: 8
    .kernarg_segment_size: 64
    .language:       OpenCL C
    .language_version:
      - 2
      - 0
    .max_flat_workgroup_size: 256
    .name:           _ZN7rocprim17ROCPRIM_400000_NS6detail17trampoline_kernelINS0_14default_configENS1_22reduce_config_selectorI18summary_stats_dataIfEEEZNS1_11reduce_implILb1ES3_PS6_S9_S6_23summary_stats_binary_opIfEEE10hipError_tPvRmT1_T2_T3_mT4_P12ihipStream_tbEUlT_E1_NS1_11comp_targetILNS1_3genE5ELNS1_11target_archE942ELNS1_3gpuE9ELNS1_3repE0EEENS1_30default_config_static_selectorELNS0_4arch9wavefront6targetE0EEEvSF_
    .private_segment_fixed_size: 0
    .sgpr_count:     0
    .sgpr_spill_count: 0
    .symbol:         _ZN7rocprim17ROCPRIM_400000_NS6detail17trampoline_kernelINS0_14default_configENS1_22reduce_config_selectorI18summary_stats_dataIfEEEZNS1_11reduce_implILb1ES3_PS6_S9_S6_23summary_stats_binary_opIfEEE10hipError_tPvRmT1_T2_T3_mT4_P12ihipStream_tbEUlT_E1_NS1_11comp_targetILNS1_3genE5ELNS1_11target_archE942ELNS1_3gpuE9ELNS1_3repE0EEENS1_30default_config_static_selectorELNS0_4arch9wavefront6targetE0EEEvSF_.kd
    .uniform_work_group_size: 1
    .uses_dynamic_stack: false
    .vgpr_count:     0
    .vgpr_spill_count: 0
    .wavefront_size: 32
    .workgroup_processor_mode: 1
  - .args:
      - .offset:         0
        .size:           64
        .value_kind:     by_value
    .group_segment_fixed_size: 0
    .kernarg_segment_align: 8
    .kernarg_segment_size: 64
    .language:       OpenCL C
    .language_version:
      - 2
      - 0
    .max_flat_workgroup_size: 256
    .name:           _ZN7rocprim17ROCPRIM_400000_NS6detail17trampoline_kernelINS0_14default_configENS1_22reduce_config_selectorI18summary_stats_dataIfEEEZNS1_11reduce_implILb1ES3_PS6_S9_S6_23summary_stats_binary_opIfEEE10hipError_tPvRmT1_T2_T3_mT4_P12ihipStream_tbEUlT_E1_NS1_11comp_targetILNS1_3genE4ELNS1_11target_archE910ELNS1_3gpuE8ELNS1_3repE0EEENS1_30default_config_static_selectorELNS0_4arch9wavefront6targetE0EEEvSF_
    .private_segment_fixed_size: 0
    .sgpr_count:     0
    .sgpr_spill_count: 0
    .symbol:         _ZN7rocprim17ROCPRIM_400000_NS6detail17trampoline_kernelINS0_14default_configENS1_22reduce_config_selectorI18summary_stats_dataIfEEEZNS1_11reduce_implILb1ES3_PS6_S9_S6_23summary_stats_binary_opIfEEE10hipError_tPvRmT1_T2_T3_mT4_P12ihipStream_tbEUlT_E1_NS1_11comp_targetILNS1_3genE4ELNS1_11target_archE910ELNS1_3gpuE8ELNS1_3repE0EEENS1_30default_config_static_selectorELNS0_4arch9wavefront6targetE0EEEvSF_.kd
    .uniform_work_group_size: 1
    .uses_dynamic_stack: false
    .vgpr_count:     0
    .vgpr_spill_count: 0
    .wavefront_size: 32
    .workgroup_processor_mode: 1
  - .args:
      - .offset:         0
        .size:           64
        .value_kind:     by_value
    .group_segment_fixed_size: 0
    .kernarg_segment_align: 8
    .kernarg_segment_size: 64
    .language:       OpenCL C
    .language_version:
      - 2
      - 0
    .max_flat_workgroup_size: 256
    .name:           _ZN7rocprim17ROCPRIM_400000_NS6detail17trampoline_kernelINS0_14default_configENS1_22reduce_config_selectorI18summary_stats_dataIfEEEZNS1_11reduce_implILb1ES3_PS6_S9_S6_23summary_stats_binary_opIfEEE10hipError_tPvRmT1_T2_T3_mT4_P12ihipStream_tbEUlT_E1_NS1_11comp_targetILNS1_3genE3ELNS1_11target_archE908ELNS1_3gpuE7ELNS1_3repE0EEENS1_30default_config_static_selectorELNS0_4arch9wavefront6targetE0EEEvSF_
    .private_segment_fixed_size: 0
    .sgpr_count:     0
    .sgpr_spill_count: 0
    .symbol:         _ZN7rocprim17ROCPRIM_400000_NS6detail17trampoline_kernelINS0_14default_configENS1_22reduce_config_selectorI18summary_stats_dataIfEEEZNS1_11reduce_implILb1ES3_PS6_S9_S6_23summary_stats_binary_opIfEEE10hipError_tPvRmT1_T2_T3_mT4_P12ihipStream_tbEUlT_E1_NS1_11comp_targetILNS1_3genE3ELNS1_11target_archE908ELNS1_3gpuE7ELNS1_3repE0EEENS1_30default_config_static_selectorELNS0_4arch9wavefront6targetE0EEEvSF_.kd
    .uniform_work_group_size: 1
    .uses_dynamic_stack: false
    .vgpr_count:     0
    .vgpr_spill_count: 0
    .wavefront_size: 32
    .workgroup_processor_mode: 1
  - .args:
      - .offset:         0
        .size:           64
        .value_kind:     by_value
    .group_segment_fixed_size: 0
    .kernarg_segment_align: 8
    .kernarg_segment_size: 64
    .language:       OpenCL C
    .language_version:
      - 2
      - 0
    .max_flat_workgroup_size: 256
    .name:           _ZN7rocprim17ROCPRIM_400000_NS6detail17trampoline_kernelINS0_14default_configENS1_22reduce_config_selectorI18summary_stats_dataIfEEEZNS1_11reduce_implILb1ES3_PS6_S9_S6_23summary_stats_binary_opIfEEE10hipError_tPvRmT1_T2_T3_mT4_P12ihipStream_tbEUlT_E1_NS1_11comp_targetILNS1_3genE2ELNS1_11target_archE906ELNS1_3gpuE6ELNS1_3repE0EEENS1_30default_config_static_selectorELNS0_4arch9wavefront6targetE0EEEvSF_
    .private_segment_fixed_size: 0
    .sgpr_count:     0
    .sgpr_spill_count: 0
    .symbol:         _ZN7rocprim17ROCPRIM_400000_NS6detail17trampoline_kernelINS0_14default_configENS1_22reduce_config_selectorI18summary_stats_dataIfEEEZNS1_11reduce_implILb1ES3_PS6_S9_S6_23summary_stats_binary_opIfEEE10hipError_tPvRmT1_T2_T3_mT4_P12ihipStream_tbEUlT_E1_NS1_11comp_targetILNS1_3genE2ELNS1_11target_archE906ELNS1_3gpuE6ELNS1_3repE0EEENS1_30default_config_static_selectorELNS0_4arch9wavefront6targetE0EEEvSF_.kd
    .uniform_work_group_size: 1
    .uses_dynamic_stack: false
    .vgpr_count:     0
    .vgpr_spill_count: 0
    .wavefront_size: 32
    .workgroup_processor_mode: 1
  - .args:
      - .offset:         0
        .size:           64
        .value_kind:     by_value
    .group_segment_fixed_size: 0
    .kernarg_segment_align: 8
    .kernarg_segment_size: 64
    .language:       OpenCL C
    .language_version:
      - 2
      - 0
    .max_flat_workgroup_size: 256
    .name:           _ZN7rocprim17ROCPRIM_400000_NS6detail17trampoline_kernelINS0_14default_configENS1_22reduce_config_selectorI18summary_stats_dataIfEEEZNS1_11reduce_implILb1ES3_PS6_S9_S6_23summary_stats_binary_opIfEEE10hipError_tPvRmT1_T2_T3_mT4_P12ihipStream_tbEUlT_E1_NS1_11comp_targetILNS1_3genE10ELNS1_11target_archE1201ELNS1_3gpuE5ELNS1_3repE0EEENS1_30default_config_static_selectorELNS0_4arch9wavefront6targetE0EEEvSF_
    .private_segment_fixed_size: 0
    .sgpr_count:     0
    .sgpr_spill_count: 0
    .symbol:         _ZN7rocprim17ROCPRIM_400000_NS6detail17trampoline_kernelINS0_14default_configENS1_22reduce_config_selectorI18summary_stats_dataIfEEEZNS1_11reduce_implILb1ES3_PS6_S9_S6_23summary_stats_binary_opIfEEE10hipError_tPvRmT1_T2_T3_mT4_P12ihipStream_tbEUlT_E1_NS1_11comp_targetILNS1_3genE10ELNS1_11target_archE1201ELNS1_3gpuE5ELNS1_3repE0EEENS1_30default_config_static_selectorELNS0_4arch9wavefront6targetE0EEEvSF_.kd
    .uniform_work_group_size: 1
    .uses_dynamic_stack: false
    .vgpr_count:     0
    .vgpr_spill_count: 0
    .wavefront_size: 32
    .workgroup_processor_mode: 1
  - .args:
      - .offset:         0
        .size:           64
        .value_kind:     by_value
    .group_segment_fixed_size: 0
    .kernarg_segment_align: 8
    .kernarg_segment_size: 64
    .language:       OpenCL C
    .language_version:
      - 2
      - 0
    .max_flat_workgroup_size: 256
    .name:           _ZN7rocprim17ROCPRIM_400000_NS6detail17trampoline_kernelINS0_14default_configENS1_22reduce_config_selectorI18summary_stats_dataIfEEEZNS1_11reduce_implILb1ES3_PS6_S9_S6_23summary_stats_binary_opIfEEE10hipError_tPvRmT1_T2_T3_mT4_P12ihipStream_tbEUlT_E1_NS1_11comp_targetILNS1_3genE10ELNS1_11target_archE1200ELNS1_3gpuE4ELNS1_3repE0EEENS1_30default_config_static_selectorELNS0_4arch9wavefront6targetE0EEEvSF_
    .private_segment_fixed_size: 0
    .sgpr_count:     0
    .sgpr_spill_count: 0
    .symbol:         _ZN7rocprim17ROCPRIM_400000_NS6detail17trampoline_kernelINS0_14default_configENS1_22reduce_config_selectorI18summary_stats_dataIfEEEZNS1_11reduce_implILb1ES3_PS6_S9_S6_23summary_stats_binary_opIfEEE10hipError_tPvRmT1_T2_T3_mT4_P12ihipStream_tbEUlT_E1_NS1_11comp_targetILNS1_3genE10ELNS1_11target_archE1200ELNS1_3gpuE4ELNS1_3repE0EEENS1_30default_config_static_selectorELNS0_4arch9wavefront6targetE0EEEvSF_.kd
    .uniform_work_group_size: 1
    .uses_dynamic_stack: false
    .vgpr_count:     0
    .vgpr_spill_count: 0
    .wavefront_size: 32
    .workgroup_processor_mode: 1
  - .args:
      - .offset:         0
        .size:           64
        .value_kind:     by_value
    .group_segment_fixed_size: 896
    .kernarg_segment_align: 8
    .kernarg_segment_size: 64
    .language:       OpenCL C
    .language_version:
      - 2
      - 0
    .max_flat_workgroup_size: 256
    .name:           _ZN7rocprim17ROCPRIM_400000_NS6detail17trampoline_kernelINS0_14default_configENS1_22reduce_config_selectorI18summary_stats_dataIfEEEZNS1_11reduce_implILb1ES3_PS6_S9_S6_23summary_stats_binary_opIfEEE10hipError_tPvRmT1_T2_T3_mT4_P12ihipStream_tbEUlT_E1_NS1_11comp_targetILNS1_3genE9ELNS1_11target_archE1100ELNS1_3gpuE3ELNS1_3repE0EEENS1_30default_config_static_selectorELNS0_4arch9wavefront6targetE0EEEvSF_
    .private_segment_fixed_size: 0
    .sgpr_count:     29
    .sgpr_spill_count: 0
    .symbol:         _ZN7rocprim17ROCPRIM_400000_NS6detail17trampoline_kernelINS0_14default_configENS1_22reduce_config_selectorI18summary_stats_dataIfEEEZNS1_11reduce_implILb1ES3_PS6_S9_S6_23summary_stats_binary_opIfEEE10hipError_tPvRmT1_T2_T3_mT4_P12ihipStream_tbEUlT_E1_NS1_11comp_targetILNS1_3genE9ELNS1_11target_archE1100ELNS1_3gpuE3ELNS1_3repE0EEENS1_30default_config_static_selectorELNS0_4arch9wavefront6targetE0EEEvSF_.kd
    .uniform_work_group_size: 1
    .uses_dynamic_stack: false
    .vgpr_count:     84
    .vgpr_spill_count: 0
    .wavefront_size: 32
    .workgroup_processor_mode: 1
  - .args:
      - .offset:         0
        .size:           64
        .value_kind:     by_value
    .group_segment_fixed_size: 0
    .kernarg_segment_align: 8
    .kernarg_segment_size: 64
    .language:       OpenCL C
    .language_version:
      - 2
      - 0
    .max_flat_workgroup_size: 256
    .name:           _ZN7rocprim17ROCPRIM_400000_NS6detail17trampoline_kernelINS0_14default_configENS1_22reduce_config_selectorI18summary_stats_dataIfEEEZNS1_11reduce_implILb1ES3_PS6_S9_S6_23summary_stats_binary_opIfEEE10hipError_tPvRmT1_T2_T3_mT4_P12ihipStream_tbEUlT_E1_NS1_11comp_targetILNS1_3genE8ELNS1_11target_archE1030ELNS1_3gpuE2ELNS1_3repE0EEENS1_30default_config_static_selectorELNS0_4arch9wavefront6targetE0EEEvSF_
    .private_segment_fixed_size: 0
    .sgpr_count:     0
    .sgpr_spill_count: 0
    .symbol:         _ZN7rocprim17ROCPRIM_400000_NS6detail17trampoline_kernelINS0_14default_configENS1_22reduce_config_selectorI18summary_stats_dataIfEEEZNS1_11reduce_implILb1ES3_PS6_S9_S6_23summary_stats_binary_opIfEEE10hipError_tPvRmT1_T2_T3_mT4_P12ihipStream_tbEUlT_E1_NS1_11comp_targetILNS1_3genE8ELNS1_11target_archE1030ELNS1_3gpuE2ELNS1_3repE0EEENS1_30default_config_static_selectorELNS0_4arch9wavefront6targetE0EEEvSF_.kd
    .uniform_work_group_size: 1
    .uses_dynamic_stack: false
    .vgpr_count:     0
    .vgpr_spill_count: 0
    .wavefront_size: 32
    .workgroup_processor_mode: 1
  - .args:
      - .offset:         0
        .size:           88
        .value_kind:     by_value
    .group_segment_fixed_size: 0
    .kernarg_segment_align: 8
    .kernarg_segment_size: 88
    .language:       OpenCL C
    .language_version:
      - 2
      - 0
    .max_flat_workgroup_size: 256
    .name:           _ZN7rocprim17ROCPRIM_400000_NS6detail17trampoline_kernelINS0_14default_configENS1_22reduce_config_selectorI18summary_stats_dataIfEEEZNS1_11reduce_implILb1ES3_N6thrust23THRUST_200600_302600_NS11hip_rocprim26transform_input_iterator_tIS6_NSA_6detail15normal_iteratorINSA_10device_ptrIfEEEE22summary_stats_unary_opIfEEEPS6_S6_23summary_stats_binary_opIfEEE10hipError_tPvRmT1_T2_T3_mT4_P12ihipStream_tbEUlT_E0_NS1_11comp_targetILNS1_3genE0ELNS1_11target_archE4294967295ELNS1_3gpuE0ELNS1_3repE0EEENS1_30default_config_static_selectorELNS0_4arch9wavefront6targetE0EEEvSR_
    .private_segment_fixed_size: 0
    .sgpr_count:     0
    .sgpr_spill_count: 0
    .symbol:         _ZN7rocprim17ROCPRIM_400000_NS6detail17trampoline_kernelINS0_14default_configENS1_22reduce_config_selectorI18summary_stats_dataIfEEEZNS1_11reduce_implILb1ES3_N6thrust23THRUST_200600_302600_NS11hip_rocprim26transform_input_iterator_tIS6_NSA_6detail15normal_iteratorINSA_10device_ptrIfEEEE22summary_stats_unary_opIfEEEPS6_S6_23summary_stats_binary_opIfEEE10hipError_tPvRmT1_T2_T3_mT4_P12ihipStream_tbEUlT_E0_NS1_11comp_targetILNS1_3genE0ELNS1_11target_archE4294967295ELNS1_3gpuE0ELNS1_3repE0EEENS1_30default_config_static_selectorELNS0_4arch9wavefront6targetE0EEEvSR_.kd
    .uniform_work_group_size: 1
    .uses_dynamic_stack: false
    .vgpr_count:     0
    .vgpr_spill_count: 0
    .wavefront_size: 32
    .workgroup_processor_mode: 1
  - .args:
      - .offset:         0
        .size:           88
        .value_kind:     by_value
    .group_segment_fixed_size: 0
    .kernarg_segment_align: 8
    .kernarg_segment_size: 88
    .language:       OpenCL C
    .language_version:
      - 2
      - 0
    .max_flat_workgroup_size: 256
    .name:           _ZN7rocprim17ROCPRIM_400000_NS6detail17trampoline_kernelINS0_14default_configENS1_22reduce_config_selectorI18summary_stats_dataIfEEEZNS1_11reduce_implILb1ES3_N6thrust23THRUST_200600_302600_NS11hip_rocprim26transform_input_iterator_tIS6_NSA_6detail15normal_iteratorINSA_10device_ptrIfEEEE22summary_stats_unary_opIfEEEPS6_S6_23summary_stats_binary_opIfEEE10hipError_tPvRmT1_T2_T3_mT4_P12ihipStream_tbEUlT_E0_NS1_11comp_targetILNS1_3genE5ELNS1_11target_archE942ELNS1_3gpuE9ELNS1_3repE0EEENS1_30default_config_static_selectorELNS0_4arch9wavefront6targetE0EEEvSR_
    .private_segment_fixed_size: 0
    .sgpr_count:     0
    .sgpr_spill_count: 0
    .symbol:         _ZN7rocprim17ROCPRIM_400000_NS6detail17trampoline_kernelINS0_14default_configENS1_22reduce_config_selectorI18summary_stats_dataIfEEEZNS1_11reduce_implILb1ES3_N6thrust23THRUST_200600_302600_NS11hip_rocprim26transform_input_iterator_tIS6_NSA_6detail15normal_iteratorINSA_10device_ptrIfEEEE22summary_stats_unary_opIfEEEPS6_S6_23summary_stats_binary_opIfEEE10hipError_tPvRmT1_T2_T3_mT4_P12ihipStream_tbEUlT_E0_NS1_11comp_targetILNS1_3genE5ELNS1_11target_archE942ELNS1_3gpuE9ELNS1_3repE0EEENS1_30default_config_static_selectorELNS0_4arch9wavefront6targetE0EEEvSR_.kd
    .uniform_work_group_size: 1
    .uses_dynamic_stack: false
    .vgpr_count:     0
    .vgpr_spill_count: 0
    .wavefront_size: 32
    .workgroup_processor_mode: 1
  - .args:
      - .offset:         0
        .size:           88
        .value_kind:     by_value
    .group_segment_fixed_size: 0
    .kernarg_segment_align: 8
    .kernarg_segment_size: 88
    .language:       OpenCL C
    .language_version:
      - 2
      - 0
    .max_flat_workgroup_size: 256
    .name:           _ZN7rocprim17ROCPRIM_400000_NS6detail17trampoline_kernelINS0_14default_configENS1_22reduce_config_selectorI18summary_stats_dataIfEEEZNS1_11reduce_implILb1ES3_N6thrust23THRUST_200600_302600_NS11hip_rocprim26transform_input_iterator_tIS6_NSA_6detail15normal_iteratorINSA_10device_ptrIfEEEE22summary_stats_unary_opIfEEEPS6_S6_23summary_stats_binary_opIfEEE10hipError_tPvRmT1_T2_T3_mT4_P12ihipStream_tbEUlT_E0_NS1_11comp_targetILNS1_3genE4ELNS1_11target_archE910ELNS1_3gpuE8ELNS1_3repE0EEENS1_30default_config_static_selectorELNS0_4arch9wavefront6targetE0EEEvSR_
    .private_segment_fixed_size: 0
    .sgpr_count:     0
    .sgpr_spill_count: 0
    .symbol:         _ZN7rocprim17ROCPRIM_400000_NS6detail17trampoline_kernelINS0_14default_configENS1_22reduce_config_selectorI18summary_stats_dataIfEEEZNS1_11reduce_implILb1ES3_N6thrust23THRUST_200600_302600_NS11hip_rocprim26transform_input_iterator_tIS6_NSA_6detail15normal_iteratorINSA_10device_ptrIfEEEE22summary_stats_unary_opIfEEEPS6_S6_23summary_stats_binary_opIfEEE10hipError_tPvRmT1_T2_T3_mT4_P12ihipStream_tbEUlT_E0_NS1_11comp_targetILNS1_3genE4ELNS1_11target_archE910ELNS1_3gpuE8ELNS1_3repE0EEENS1_30default_config_static_selectorELNS0_4arch9wavefront6targetE0EEEvSR_.kd
    .uniform_work_group_size: 1
    .uses_dynamic_stack: false
    .vgpr_count:     0
    .vgpr_spill_count: 0
    .wavefront_size: 32
    .workgroup_processor_mode: 1
  - .args:
      - .offset:         0
        .size:           88
        .value_kind:     by_value
    .group_segment_fixed_size: 0
    .kernarg_segment_align: 8
    .kernarg_segment_size: 88
    .language:       OpenCL C
    .language_version:
      - 2
      - 0
    .max_flat_workgroup_size: 256
    .name:           _ZN7rocprim17ROCPRIM_400000_NS6detail17trampoline_kernelINS0_14default_configENS1_22reduce_config_selectorI18summary_stats_dataIfEEEZNS1_11reduce_implILb1ES3_N6thrust23THRUST_200600_302600_NS11hip_rocprim26transform_input_iterator_tIS6_NSA_6detail15normal_iteratorINSA_10device_ptrIfEEEE22summary_stats_unary_opIfEEEPS6_S6_23summary_stats_binary_opIfEEE10hipError_tPvRmT1_T2_T3_mT4_P12ihipStream_tbEUlT_E0_NS1_11comp_targetILNS1_3genE3ELNS1_11target_archE908ELNS1_3gpuE7ELNS1_3repE0EEENS1_30default_config_static_selectorELNS0_4arch9wavefront6targetE0EEEvSR_
    .private_segment_fixed_size: 0
    .sgpr_count:     0
    .sgpr_spill_count: 0
    .symbol:         _ZN7rocprim17ROCPRIM_400000_NS6detail17trampoline_kernelINS0_14default_configENS1_22reduce_config_selectorI18summary_stats_dataIfEEEZNS1_11reduce_implILb1ES3_N6thrust23THRUST_200600_302600_NS11hip_rocprim26transform_input_iterator_tIS6_NSA_6detail15normal_iteratorINSA_10device_ptrIfEEEE22summary_stats_unary_opIfEEEPS6_S6_23summary_stats_binary_opIfEEE10hipError_tPvRmT1_T2_T3_mT4_P12ihipStream_tbEUlT_E0_NS1_11comp_targetILNS1_3genE3ELNS1_11target_archE908ELNS1_3gpuE7ELNS1_3repE0EEENS1_30default_config_static_selectorELNS0_4arch9wavefront6targetE0EEEvSR_.kd
    .uniform_work_group_size: 1
    .uses_dynamic_stack: false
    .vgpr_count:     0
    .vgpr_spill_count: 0
    .wavefront_size: 32
    .workgroup_processor_mode: 1
  - .args:
      - .offset:         0
        .size:           88
        .value_kind:     by_value
    .group_segment_fixed_size: 0
    .kernarg_segment_align: 8
    .kernarg_segment_size: 88
    .language:       OpenCL C
    .language_version:
      - 2
      - 0
    .max_flat_workgroup_size: 256
    .name:           _ZN7rocprim17ROCPRIM_400000_NS6detail17trampoline_kernelINS0_14default_configENS1_22reduce_config_selectorI18summary_stats_dataIfEEEZNS1_11reduce_implILb1ES3_N6thrust23THRUST_200600_302600_NS11hip_rocprim26transform_input_iterator_tIS6_NSA_6detail15normal_iteratorINSA_10device_ptrIfEEEE22summary_stats_unary_opIfEEEPS6_S6_23summary_stats_binary_opIfEEE10hipError_tPvRmT1_T2_T3_mT4_P12ihipStream_tbEUlT_E0_NS1_11comp_targetILNS1_3genE2ELNS1_11target_archE906ELNS1_3gpuE6ELNS1_3repE0EEENS1_30default_config_static_selectorELNS0_4arch9wavefront6targetE0EEEvSR_
    .private_segment_fixed_size: 0
    .sgpr_count:     0
    .sgpr_spill_count: 0
    .symbol:         _ZN7rocprim17ROCPRIM_400000_NS6detail17trampoline_kernelINS0_14default_configENS1_22reduce_config_selectorI18summary_stats_dataIfEEEZNS1_11reduce_implILb1ES3_N6thrust23THRUST_200600_302600_NS11hip_rocprim26transform_input_iterator_tIS6_NSA_6detail15normal_iteratorINSA_10device_ptrIfEEEE22summary_stats_unary_opIfEEEPS6_S6_23summary_stats_binary_opIfEEE10hipError_tPvRmT1_T2_T3_mT4_P12ihipStream_tbEUlT_E0_NS1_11comp_targetILNS1_3genE2ELNS1_11target_archE906ELNS1_3gpuE6ELNS1_3repE0EEENS1_30default_config_static_selectorELNS0_4arch9wavefront6targetE0EEEvSR_.kd
    .uniform_work_group_size: 1
    .uses_dynamic_stack: false
    .vgpr_count:     0
    .vgpr_spill_count: 0
    .wavefront_size: 32
    .workgroup_processor_mode: 1
  - .args:
      - .offset:         0
        .size:           88
        .value_kind:     by_value
    .group_segment_fixed_size: 0
    .kernarg_segment_align: 8
    .kernarg_segment_size: 88
    .language:       OpenCL C
    .language_version:
      - 2
      - 0
    .max_flat_workgroup_size: 256
    .name:           _ZN7rocprim17ROCPRIM_400000_NS6detail17trampoline_kernelINS0_14default_configENS1_22reduce_config_selectorI18summary_stats_dataIfEEEZNS1_11reduce_implILb1ES3_N6thrust23THRUST_200600_302600_NS11hip_rocprim26transform_input_iterator_tIS6_NSA_6detail15normal_iteratorINSA_10device_ptrIfEEEE22summary_stats_unary_opIfEEEPS6_S6_23summary_stats_binary_opIfEEE10hipError_tPvRmT1_T2_T3_mT4_P12ihipStream_tbEUlT_E0_NS1_11comp_targetILNS1_3genE10ELNS1_11target_archE1201ELNS1_3gpuE5ELNS1_3repE0EEENS1_30default_config_static_selectorELNS0_4arch9wavefront6targetE0EEEvSR_
    .private_segment_fixed_size: 0
    .sgpr_count:     0
    .sgpr_spill_count: 0
    .symbol:         _ZN7rocprim17ROCPRIM_400000_NS6detail17trampoline_kernelINS0_14default_configENS1_22reduce_config_selectorI18summary_stats_dataIfEEEZNS1_11reduce_implILb1ES3_N6thrust23THRUST_200600_302600_NS11hip_rocprim26transform_input_iterator_tIS6_NSA_6detail15normal_iteratorINSA_10device_ptrIfEEEE22summary_stats_unary_opIfEEEPS6_S6_23summary_stats_binary_opIfEEE10hipError_tPvRmT1_T2_T3_mT4_P12ihipStream_tbEUlT_E0_NS1_11comp_targetILNS1_3genE10ELNS1_11target_archE1201ELNS1_3gpuE5ELNS1_3repE0EEENS1_30default_config_static_selectorELNS0_4arch9wavefront6targetE0EEEvSR_.kd
    .uniform_work_group_size: 1
    .uses_dynamic_stack: false
    .vgpr_count:     0
    .vgpr_spill_count: 0
    .wavefront_size: 32
    .workgroup_processor_mode: 1
  - .args:
      - .offset:         0
        .size:           88
        .value_kind:     by_value
    .group_segment_fixed_size: 0
    .kernarg_segment_align: 8
    .kernarg_segment_size: 88
    .language:       OpenCL C
    .language_version:
      - 2
      - 0
    .max_flat_workgroup_size: 256
    .name:           _ZN7rocprim17ROCPRIM_400000_NS6detail17trampoline_kernelINS0_14default_configENS1_22reduce_config_selectorI18summary_stats_dataIfEEEZNS1_11reduce_implILb1ES3_N6thrust23THRUST_200600_302600_NS11hip_rocprim26transform_input_iterator_tIS6_NSA_6detail15normal_iteratorINSA_10device_ptrIfEEEE22summary_stats_unary_opIfEEEPS6_S6_23summary_stats_binary_opIfEEE10hipError_tPvRmT1_T2_T3_mT4_P12ihipStream_tbEUlT_E0_NS1_11comp_targetILNS1_3genE10ELNS1_11target_archE1200ELNS1_3gpuE4ELNS1_3repE0EEENS1_30default_config_static_selectorELNS0_4arch9wavefront6targetE0EEEvSR_
    .private_segment_fixed_size: 0
    .sgpr_count:     0
    .sgpr_spill_count: 0
    .symbol:         _ZN7rocprim17ROCPRIM_400000_NS6detail17trampoline_kernelINS0_14default_configENS1_22reduce_config_selectorI18summary_stats_dataIfEEEZNS1_11reduce_implILb1ES3_N6thrust23THRUST_200600_302600_NS11hip_rocprim26transform_input_iterator_tIS6_NSA_6detail15normal_iteratorINSA_10device_ptrIfEEEE22summary_stats_unary_opIfEEEPS6_S6_23summary_stats_binary_opIfEEE10hipError_tPvRmT1_T2_T3_mT4_P12ihipStream_tbEUlT_E0_NS1_11comp_targetILNS1_3genE10ELNS1_11target_archE1200ELNS1_3gpuE4ELNS1_3repE0EEENS1_30default_config_static_selectorELNS0_4arch9wavefront6targetE0EEEvSR_.kd
    .uniform_work_group_size: 1
    .uses_dynamic_stack: false
    .vgpr_count:     0
    .vgpr_spill_count: 0
    .wavefront_size: 32
    .workgroup_processor_mode: 1
  - .args:
      - .offset:         0
        .size:           88
        .value_kind:     by_value
    .group_segment_fixed_size: 448
    .kernarg_segment_align: 8
    .kernarg_segment_size: 88
    .language:       OpenCL C
    .language_version:
      - 2
      - 0
    .max_flat_workgroup_size: 256
    .name:           _ZN7rocprim17ROCPRIM_400000_NS6detail17trampoline_kernelINS0_14default_configENS1_22reduce_config_selectorI18summary_stats_dataIfEEEZNS1_11reduce_implILb1ES3_N6thrust23THRUST_200600_302600_NS11hip_rocprim26transform_input_iterator_tIS6_NSA_6detail15normal_iteratorINSA_10device_ptrIfEEEE22summary_stats_unary_opIfEEEPS6_S6_23summary_stats_binary_opIfEEE10hipError_tPvRmT1_T2_T3_mT4_P12ihipStream_tbEUlT_E0_NS1_11comp_targetILNS1_3genE9ELNS1_11target_archE1100ELNS1_3gpuE3ELNS1_3repE0EEENS1_30default_config_static_selectorELNS0_4arch9wavefront6targetE0EEEvSR_
    .private_segment_fixed_size: 0
    .sgpr_count:     28
    .sgpr_spill_count: 0
    .symbol:         _ZN7rocprim17ROCPRIM_400000_NS6detail17trampoline_kernelINS0_14default_configENS1_22reduce_config_selectorI18summary_stats_dataIfEEEZNS1_11reduce_implILb1ES3_N6thrust23THRUST_200600_302600_NS11hip_rocprim26transform_input_iterator_tIS6_NSA_6detail15normal_iteratorINSA_10device_ptrIfEEEE22summary_stats_unary_opIfEEEPS6_S6_23summary_stats_binary_opIfEEE10hipError_tPvRmT1_T2_T3_mT4_P12ihipStream_tbEUlT_E0_NS1_11comp_targetILNS1_3genE9ELNS1_11target_archE1100ELNS1_3gpuE3ELNS1_3repE0EEENS1_30default_config_static_selectorELNS0_4arch9wavefront6targetE0EEEvSR_.kd
    .uniform_work_group_size: 1
    .uses_dynamic_stack: false
    .vgpr_count:     79
    .vgpr_spill_count: 0
    .wavefront_size: 32
    .workgroup_processor_mode: 1
  - .args:
      - .offset:         0
        .size:           88
        .value_kind:     by_value
    .group_segment_fixed_size: 0
    .kernarg_segment_align: 8
    .kernarg_segment_size: 88
    .language:       OpenCL C
    .language_version:
      - 2
      - 0
    .max_flat_workgroup_size: 256
    .name:           _ZN7rocprim17ROCPRIM_400000_NS6detail17trampoline_kernelINS0_14default_configENS1_22reduce_config_selectorI18summary_stats_dataIfEEEZNS1_11reduce_implILb1ES3_N6thrust23THRUST_200600_302600_NS11hip_rocprim26transform_input_iterator_tIS6_NSA_6detail15normal_iteratorINSA_10device_ptrIfEEEE22summary_stats_unary_opIfEEEPS6_S6_23summary_stats_binary_opIfEEE10hipError_tPvRmT1_T2_T3_mT4_P12ihipStream_tbEUlT_E0_NS1_11comp_targetILNS1_3genE8ELNS1_11target_archE1030ELNS1_3gpuE2ELNS1_3repE0EEENS1_30default_config_static_selectorELNS0_4arch9wavefront6targetE0EEEvSR_
    .private_segment_fixed_size: 0
    .sgpr_count:     0
    .sgpr_spill_count: 0
    .symbol:         _ZN7rocprim17ROCPRIM_400000_NS6detail17trampoline_kernelINS0_14default_configENS1_22reduce_config_selectorI18summary_stats_dataIfEEEZNS1_11reduce_implILb1ES3_N6thrust23THRUST_200600_302600_NS11hip_rocprim26transform_input_iterator_tIS6_NSA_6detail15normal_iteratorINSA_10device_ptrIfEEEE22summary_stats_unary_opIfEEEPS6_S6_23summary_stats_binary_opIfEEE10hipError_tPvRmT1_T2_T3_mT4_P12ihipStream_tbEUlT_E0_NS1_11comp_targetILNS1_3genE8ELNS1_11target_archE1030ELNS1_3gpuE2ELNS1_3repE0EEENS1_30default_config_static_selectorELNS0_4arch9wavefront6targetE0EEEvSR_.kd
    .uniform_work_group_size: 1
    .uses_dynamic_stack: false
    .vgpr_count:     0
    .vgpr_spill_count: 0
    .wavefront_size: 32
    .workgroup_processor_mode: 1
  - .args:
      - .offset:         0
        .size:           72
        .value_kind:     by_value
    .group_segment_fixed_size: 0
    .kernarg_segment_align: 8
    .kernarg_segment_size: 72
    .language:       OpenCL C
    .language_version:
      - 2
      - 0
    .max_flat_workgroup_size: 256
    .name:           _ZN7rocprim17ROCPRIM_400000_NS6detail17trampoline_kernelINS0_14default_configENS1_22reduce_config_selectorI18summary_stats_dataIfEEEZNS1_11reduce_implILb1ES3_N6thrust23THRUST_200600_302600_NS11hip_rocprim26transform_input_iterator_tIS6_NSA_6detail15normal_iteratorINSA_10device_ptrIfEEEE22summary_stats_unary_opIfEEEPS6_S6_23summary_stats_binary_opIfEEE10hipError_tPvRmT1_T2_T3_mT4_P12ihipStream_tbEUlT_E1_NS1_11comp_targetILNS1_3genE0ELNS1_11target_archE4294967295ELNS1_3gpuE0ELNS1_3repE0EEENS1_30default_config_static_selectorELNS0_4arch9wavefront6targetE0EEEvSR_
    .private_segment_fixed_size: 0
    .sgpr_count:     0
    .sgpr_spill_count: 0
    .symbol:         _ZN7rocprim17ROCPRIM_400000_NS6detail17trampoline_kernelINS0_14default_configENS1_22reduce_config_selectorI18summary_stats_dataIfEEEZNS1_11reduce_implILb1ES3_N6thrust23THRUST_200600_302600_NS11hip_rocprim26transform_input_iterator_tIS6_NSA_6detail15normal_iteratorINSA_10device_ptrIfEEEE22summary_stats_unary_opIfEEEPS6_S6_23summary_stats_binary_opIfEEE10hipError_tPvRmT1_T2_T3_mT4_P12ihipStream_tbEUlT_E1_NS1_11comp_targetILNS1_3genE0ELNS1_11target_archE4294967295ELNS1_3gpuE0ELNS1_3repE0EEENS1_30default_config_static_selectorELNS0_4arch9wavefront6targetE0EEEvSR_.kd
    .uniform_work_group_size: 1
    .uses_dynamic_stack: false
    .vgpr_count:     0
    .vgpr_spill_count: 0
    .wavefront_size: 32
    .workgroup_processor_mode: 1
  - .args:
      - .offset:         0
        .size:           72
        .value_kind:     by_value
    .group_segment_fixed_size: 0
    .kernarg_segment_align: 8
    .kernarg_segment_size: 72
    .language:       OpenCL C
    .language_version:
      - 2
      - 0
    .max_flat_workgroup_size: 256
    .name:           _ZN7rocprim17ROCPRIM_400000_NS6detail17trampoline_kernelINS0_14default_configENS1_22reduce_config_selectorI18summary_stats_dataIfEEEZNS1_11reduce_implILb1ES3_N6thrust23THRUST_200600_302600_NS11hip_rocprim26transform_input_iterator_tIS6_NSA_6detail15normal_iteratorINSA_10device_ptrIfEEEE22summary_stats_unary_opIfEEEPS6_S6_23summary_stats_binary_opIfEEE10hipError_tPvRmT1_T2_T3_mT4_P12ihipStream_tbEUlT_E1_NS1_11comp_targetILNS1_3genE5ELNS1_11target_archE942ELNS1_3gpuE9ELNS1_3repE0EEENS1_30default_config_static_selectorELNS0_4arch9wavefront6targetE0EEEvSR_
    .private_segment_fixed_size: 0
    .sgpr_count:     0
    .sgpr_spill_count: 0
    .symbol:         _ZN7rocprim17ROCPRIM_400000_NS6detail17trampoline_kernelINS0_14default_configENS1_22reduce_config_selectorI18summary_stats_dataIfEEEZNS1_11reduce_implILb1ES3_N6thrust23THRUST_200600_302600_NS11hip_rocprim26transform_input_iterator_tIS6_NSA_6detail15normal_iteratorINSA_10device_ptrIfEEEE22summary_stats_unary_opIfEEEPS6_S6_23summary_stats_binary_opIfEEE10hipError_tPvRmT1_T2_T3_mT4_P12ihipStream_tbEUlT_E1_NS1_11comp_targetILNS1_3genE5ELNS1_11target_archE942ELNS1_3gpuE9ELNS1_3repE0EEENS1_30default_config_static_selectorELNS0_4arch9wavefront6targetE0EEEvSR_.kd
    .uniform_work_group_size: 1
    .uses_dynamic_stack: false
    .vgpr_count:     0
    .vgpr_spill_count: 0
    .wavefront_size: 32
    .workgroup_processor_mode: 1
  - .args:
      - .offset:         0
        .size:           72
        .value_kind:     by_value
    .group_segment_fixed_size: 0
    .kernarg_segment_align: 8
    .kernarg_segment_size: 72
    .language:       OpenCL C
    .language_version:
      - 2
      - 0
    .max_flat_workgroup_size: 256
    .name:           _ZN7rocprim17ROCPRIM_400000_NS6detail17trampoline_kernelINS0_14default_configENS1_22reduce_config_selectorI18summary_stats_dataIfEEEZNS1_11reduce_implILb1ES3_N6thrust23THRUST_200600_302600_NS11hip_rocprim26transform_input_iterator_tIS6_NSA_6detail15normal_iteratorINSA_10device_ptrIfEEEE22summary_stats_unary_opIfEEEPS6_S6_23summary_stats_binary_opIfEEE10hipError_tPvRmT1_T2_T3_mT4_P12ihipStream_tbEUlT_E1_NS1_11comp_targetILNS1_3genE4ELNS1_11target_archE910ELNS1_3gpuE8ELNS1_3repE0EEENS1_30default_config_static_selectorELNS0_4arch9wavefront6targetE0EEEvSR_
    .private_segment_fixed_size: 0
    .sgpr_count:     0
    .sgpr_spill_count: 0
    .symbol:         _ZN7rocprim17ROCPRIM_400000_NS6detail17trampoline_kernelINS0_14default_configENS1_22reduce_config_selectorI18summary_stats_dataIfEEEZNS1_11reduce_implILb1ES3_N6thrust23THRUST_200600_302600_NS11hip_rocprim26transform_input_iterator_tIS6_NSA_6detail15normal_iteratorINSA_10device_ptrIfEEEE22summary_stats_unary_opIfEEEPS6_S6_23summary_stats_binary_opIfEEE10hipError_tPvRmT1_T2_T3_mT4_P12ihipStream_tbEUlT_E1_NS1_11comp_targetILNS1_3genE4ELNS1_11target_archE910ELNS1_3gpuE8ELNS1_3repE0EEENS1_30default_config_static_selectorELNS0_4arch9wavefront6targetE0EEEvSR_.kd
    .uniform_work_group_size: 1
    .uses_dynamic_stack: false
    .vgpr_count:     0
    .vgpr_spill_count: 0
    .wavefront_size: 32
    .workgroup_processor_mode: 1
  - .args:
      - .offset:         0
        .size:           72
        .value_kind:     by_value
    .group_segment_fixed_size: 0
    .kernarg_segment_align: 8
    .kernarg_segment_size: 72
    .language:       OpenCL C
    .language_version:
      - 2
      - 0
    .max_flat_workgroup_size: 256
    .name:           _ZN7rocprim17ROCPRIM_400000_NS6detail17trampoline_kernelINS0_14default_configENS1_22reduce_config_selectorI18summary_stats_dataIfEEEZNS1_11reduce_implILb1ES3_N6thrust23THRUST_200600_302600_NS11hip_rocprim26transform_input_iterator_tIS6_NSA_6detail15normal_iteratorINSA_10device_ptrIfEEEE22summary_stats_unary_opIfEEEPS6_S6_23summary_stats_binary_opIfEEE10hipError_tPvRmT1_T2_T3_mT4_P12ihipStream_tbEUlT_E1_NS1_11comp_targetILNS1_3genE3ELNS1_11target_archE908ELNS1_3gpuE7ELNS1_3repE0EEENS1_30default_config_static_selectorELNS0_4arch9wavefront6targetE0EEEvSR_
    .private_segment_fixed_size: 0
    .sgpr_count:     0
    .sgpr_spill_count: 0
    .symbol:         _ZN7rocprim17ROCPRIM_400000_NS6detail17trampoline_kernelINS0_14default_configENS1_22reduce_config_selectorI18summary_stats_dataIfEEEZNS1_11reduce_implILb1ES3_N6thrust23THRUST_200600_302600_NS11hip_rocprim26transform_input_iterator_tIS6_NSA_6detail15normal_iteratorINSA_10device_ptrIfEEEE22summary_stats_unary_opIfEEEPS6_S6_23summary_stats_binary_opIfEEE10hipError_tPvRmT1_T2_T3_mT4_P12ihipStream_tbEUlT_E1_NS1_11comp_targetILNS1_3genE3ELNS1_11target_archE908ELNS1_3gpuE7ELNS1_3repE0EEENS1_30default_config_static_selectorELNS0_4arch9wavefront6targetE0EEEvSR_.kd
    .uniform_work_group_size: 1
    .uses_dynamic_stack: false
    .vgpr_count:     0
    .vgpr_spill_count: 0
    .wavefront_size: 32
    .workgroup_processor_mode: 1
  - .args:
      - .offset:         0
        .size:           72
        .value_kind:     by_value
    .group_segment_fixed_size: 0
    .kernarg_segment_align: 8
    .kernarg_segment_size: 72
    .language:       OpenCL C
    .language_version:
      - 2
      - 0
    .max_flat_workgroup_size: 256
    .name:           _ZN7rocprim17ROCPRIM_400000_NS6detail17trampoline_kernelINS0_14default_configENS1_22reduce_config_selectorI18summary_stats_dataIfEEEZNS1_11reduce_implILb1ES3_N6thrust23THRUST_200600_302600_NS11hip_rocprim26transform_input_iterator_tIS6_NSA_6detail15normal_iteratorINSA_10device_ptrIfEEEE22summary_stats_unary_opIfEEEPS6_S6_23summary_stats_binary_opIfEEE10hipError_tPvRmT1_T2_T3_mT4_P12ihipStream_tbEUlT_E1_NS1_11comp_targetILNS1_3genE2ELNS1_11target_archE906ELNS1_3gpuE6ELNS1_3repE0EEENS1_30default_config_static_selectorELNS0_4arch9wavefront6targetE0EEEvSR_
    .private_segment_fixed_size: 0
    .sgpr_count:     0
    .sgpr_spill_count: 0
    .symbol:         _ZN7rocprim17ROCPRIM_400000_NS6detail17trampoline_kernelINS0_14default_configENS1_22reduce_config_selectorI18summary_stats_dataIfEEEZNS1_11reduce_implILb1ES3_N6thrust23THRUST_200600_302600_NS11hip_rocprim26transform_input_iterator_tIS6_NSA_6detail15normal_iteratorINSA_10device_ptrIfEEEE22summary_stats_unary_opIfEEEPS6_S6_23summary_stats_binary_opIfEEE10hipError_tPvRmT1_T2_T3_mT4_P12ihipStream_tbEUlT_E1_NS1_11comp_targetILNS1_3genE2ELNS1_11target_archE906ELNS1_3gpuE6ELNS1_3repE0EEENS1_30default_config_static_selectorELNS0_4arch9wavefront6targetE0EEEvSR_.kd
    .uniform_work_group_size: 1
    .uses_dynamic_stack: false
    .vgpr_count:     0
    .vgpr_spill_count: 0
    .wavefront_size: 32
    .workgroup_processor_mode: 1
  - .args:
      - .offset:         0
        .size:           72
        .value_kind:     by_value
    .group_segment_fixed_size: 0
    .kernarg_segment_align: 8
    .kernarg_segment_size: 72
    .language:       OpenCL C
    .language_version:
      - 2
      - 0
    .max_flat_workgroup_size: 256
    .name:           _ZN7rocprim17ROCPRIM_400000_NS6detail17trampoline_kernelINS0_14default_configENS1_22reduce_config_selectorI18summary_stats_dataIfEEEZNS1_11reduce_implILb1ES3_N6thrust23THRUST_200600_302600_NS11hip_rocprim26transform_input_iterator_tIS6_NSA_6detail15normal_iteratorINSA_10device_ptrIfEEEE22summary_stats_unary_opIfEEEPS6_S6_23summary_stats_binary_opIfEEE10hipError_tPvRmT1_T2_T3_mT4_P12ihipStream_tbEUlT_E1_NS1_11comp_targetILNS1_3genE10ELNS1_11target_archE1201ELNS1_3gpuE5ELNS1_3repE0EEENS1_30default_config_static_selectorELNS0_4arch9wavefront6targetE0EEEvSR_
    .private_segment_fixed_size: 0
    .sgpr_count:     0
    .sgpr_spill_count: 0
    .symbol:         _ZN7rocprim17ROCPRIM_400000_NS6detail17trampoline_kernelINS0_14default_configENS1_22reduce_config_selectorI18summary_stats_dataIfEEEZNS1_11reduce_implILb1ES3_N6thrust23THRUST_200600_302600_NS11hip_rocprim26transform_input_iterator_tIS6_NSA_6detail15normal_iteratorINSA_10device_ptrIfEEEE22summary_stats_unary_opIfEEEPS6_S6_23summary_stats_binary_opIfEEE10hipError_tPvRmT1_T2_T3_mT4_P12ihipStream_tbEUlT_E1_NS1_11comp_targetILNS1_3genE10ELNS1_11target_archE1201ELNS1_3gpuE5ELNS1_3repE0EEENS1_30default_config_static_selectorELNS0_4arch9wavefront6targetE0EEEvSR_.kd
    .uniform_work_group_size: 1
    .uses_dynamic_stack: false
    .vgpr_count:     0
    .vgpr_spill_count: 0
    .wavefront_size: 32
    .workgroup_processor_mode: 1
  - .args:
      - .offset:         0
        .size:           72
        .value_kind:     by_value
    .group_segment_fixed_size: 0
    .kernarg_segment_align: 8
    .kernarg_segment_size: 72
    .language:       OpenCL C
    .language_version:
      - 2
      - 0
    .max_flat_workgroup_size: 256
    .name:           _ZN7rocprim17ROCPRIM_400000_NS6detail17trampoline_kernelINS0_14default_configENS1_22reduce_config_selectorI18summary_stats_dataIfEEEZNS1_11reduce_implILb1ES3_N6thrust23THRUST_200600_302600_NS11hip_rocprim26transform_input_iterator_tIS6_NSA_6detail15normal_iteratorINSA_10device_ptrIfEEEE22summary_stats_unary_opIfEEEPS6_S6_23summary_stats_binary_opIfEEE10hipError_tPvRmT1_T2_T3_mT4_P12ihipStream_tbEUlT_E1_NS1_11comp_targetILNS1_3genE10ELNS1_11target_archE1200ELNS1_3gpuE4ELNS1_3repE0EEENS1_30default_config_static_selectorELNS0_4arch9wavefront6targetE0EEEvSR_
    .private_segment_fixed_size: 0
    .sgpr_count:     0
    .sgpr_spill_count: 0
    .symbol:         _ZN7rocprim17ROCPRIM_400000_NS6detail17trampoline_kernelINS0_14default_configENS1_22reduce_config_selectorI18summary_stats_dataIfEEEZNS1_11reduce_implILb1ES3_N6thrust23THRUST_200600_302600_NS11hip_rocprim26transform_input_iterator_tIS6_NSA_6detail15normal_iteratorINSA_10device_ptrIfEEEE22summary_stats_unary_opIfEEEPS6_S6_23summary_stats_binary_opIfEEE10hipError_tPvRmT1_T2_T3_mT4_P12ihipStream_tbEUlT_E1_NS1_11comp_targetILNS1_3genE10ELNS1_11target_archE1200ELNS1_3gpuE4ELNS1_3repE0EEENS1_30default_config_static_selectorELNS0_4arch9wavefront6targetE0EEEvSR_.kd
    .uniform_work_group_size: 1
    .uses_dynamic_stack: false
    .vgpr_count:     0
    .vgpr_spill_count: 0
    .wavefront_size: 32
    .workgroup_processor_mode: 1
  - .args:
      - .offset:         0
        .size:           72
        .value_kind:     by_value
    .group_segment_fixed_size: 896
    .kernarg_segment_align: 8
    .kernarg_segment_size: 72
    .language:       OpenCL C
    .language_version:
      - 2
      - 0
    .max_flat_workgroup_size: 256
    .name:           _ZN7rocprim17ROCPRIM_400000_NS6detail17trampoline_kernelINS0_14default_configENS1_22reduce_config_selectorI18summary_stats_dataIfEEEZNS1_11reduce_implILb1ES3_N6thrust23THRUST_200600_302600_NS11hip_rocprim26transform_input_iterator_tIS6_NSA_6detail15normal_iteratorINSA_10device_ptrIfEEEE22summary_stats_unary_opIfEEEPS6_S6_23summary_stats_binary_opIfEEE10hipError_tPvRmT1_T2_T3_mT4_P12ihipStream_tbEUlT_E1_NS1_11comp_targetILNS1_3genE9ELNS1_11target_archE1100ELNS1_3gpuE3ELNS1_3repE0EEENS1_30default_config_static_selectorELNS0_4arch9wavefront6targetE0EEEvSR_
    .private_segment_fixed_size: 0
    .sgpr_count:     31
    .sgpr_spill_count: 0
    .symbol:         _ZN7rocprim17ROCPRIM_400000_NS6detail17trampoline_kernelINS0_14default_configENS1_22reduce_config_selectorI18summary_stats_dataIfEEEZNS1_11reduce_implILb1ES3_N6thrust23THRUST_200600_302600_NS11hip_rocprim26transform_input_iterator_tIS6_NSA_6detail15normal_iteratorINSA_10device_ptrIfEEEE22summary_stats_unary_opIfEEEPS6_S6_23summary_stats_binary_opIfEEE10hipError_tPvRmT1_T2_T3_mT4_P12ihipStream_tbEUlT_E1_NS1_11comp_targetILNS1_3genE9ELNS1_11target_archE1100ELNS1_3gpuE3ELNS1_3repE0EEENS1_30default_config_static_selectorELNS0_4arch9wavefront6targetE0EEEvSR_.kd
    .uniform_work_group_size: 1
    .uses_dynamic_stack: false
    .vgpr_count:     77
    .vgpr_spill_count: 0
    .wavefront_size: 32
    .workgroup_processor_mode: 1
  - .args:
      - .offset:         0
        .size:           72
        .value_kind:     by_value
    .group_segment_fixed_size: 0
    .kernarg_segment_align: 8
    .kernarg_segment_size: 72
    .language:       OpenCL C
    .language_version:
      - 2
      - 0
    .max_flat_workgroup_size: 256
    .name:           _ZN7rocprim17ROCPRIM_400000_NS6detail17trampoline_kernelINS0_14default_configENS1_22reduce_config_selectorI18summary_stats_dataIfEEEZNS1_11reduce_implILb1ES3_N6thrust23THRUST_200600_302600_NS11hip_rocprim26transform_input_iterator_tIS6_NSA_6detail15normal_iteratorINSA_10device_ptrIfEEEE22summary_stats_unary_opIfEEEPS6_S6_23summary_stats_binary_opIfEEE10hipError_tPvRmT1_T2_T3_mT4_P12ihipStream_tbEUlT_E1_NS1_11comp_targetILNS1_3genE8ELNS1_11target_archE1030ELNS1_3gpuE2ELNS1_3repE0EEENS1_30default_config_static_selectorELNS0_4arch9wavefront6targetE0EEEvSR_
    .private_segment_fixed_size: 0
    .sgpr_count:     0
    .sgpr_spill_count: 0
    .symbol:         _ZN7rocprim17ROCPRIM_400000_NS6detail17trampoline_kernelINS0_14default_configENS1_22reduce_config_selectorI18summary_stats_dataIfEEEZNS1_11reduce_implILb1ES3_N6thrust23THRUST_200600_302600_NS11hip_rocprim26transform_input_iterator_tIS6_NSA_6detail15normal_iteratorINSA_10device_ptrIfEEEE22summary_stats_unary_opIfEEEPS6_S6_23summary_stats_binary_opIfEEE10hipError_tPvRmT1_T2_T3_mT4_P12ihipStream_tbEUlT_E1_NS1_11comp_targetILNS1_3genE8ELNS1_11target_archE1030ELNS1_3gpuE2ELNS1_3repE0EEENS1_30default_config_static_selectorELNS0_4arch9wavefront6targetE0EEEvSR_.kd
    .uniform_work_group_size: 1
    .uses_dynamic_stack: false
    .vgpr_count:     0
    .vgpr_spill_count: 0
    .wavefront_size: 32
    .workgroup_processor_mode: 1
  - .args:
      - .offset:         0
        .size:           16
        .value_kind:     by_value
      - .offset:         16
        .size:           8
        .value_kind:     by_value
      - .offset:         24
        .size:           8
        .value_kind:     by_value
    .group_segment_fixed_size: 0
    .kernarg_segment_align: 8
    .kernarg_segment_size: 32
    .language:       OpenCL C
    .language_version:
      - 2
      - 0
    .max_flat_workgroup_size: 256
    .name:           _ZN6thrust23THRUST_200600_302600_NS11hip_rocprim14__parallel_for6kernelILj256ENS1_20__uninitialized_copy7functorINS0_6detail15normal_iteratorINS0_10device_ptrIfEEEENS0_7pointerIfNS1_3tagENS0_11use_defaultESD_EEEEmLj1EEEvT0_T1_SH_
    .private_segment_fixed_size: 0
    .sgpr_count:     18
    .sgpr_spill_count: 0
    .symbol:         _ZN6thrust23THRUST_200600_302600_NS11hip_rocprim14__parallel_for6kernelILj256ENS1_20__uninitialized_copy7functorINS0_6detail15normal_iteratorINS0_10device_ptrIfEEEENS0_7pointerIfNS1_3tagENS0_11use_defaultESD_EEEEmLj1EEEvT0_T1_SH_.kd
    .uniform_work_group_size: 1
    .uses_dynamic_stack: false
    .vgpr_count:     5
    .vgpr_spill_count: 0
    .wavefront_size: 32
    .workgroup_processor_mode: 1
amdhsa.target:   amdgcn-amd-amdhsa--gfx1100
amdhsa.version:
  - 1
  - 2
...

	.end_amdgpu_metadata
